;; amdgpu-corpus repo=ROCm/rocFFT kind=compiled arch=gfx1100 opt=O3
	.text
	.amdgcn_target "amdgcn-amd-amdhsa--gfx1100"
	.amdhsa_code_object_version 6
	.protected	fft_rtc_fwd_len2401_factors_7_7_7_7_wgs_49_tpt_49_halfLds_dp_ip_CI_unitstride_sbrr_dirReg ; -- Begin function fft_rtc_fwd_len2401_factors_7_7_7_7_wgs_49_tpt_49_halfLds_dp_ip_CI_unitstride_sbrr_dirReg
	.globl	fft_rtc_fwd_len2401_factors_7_7_7_7_wgs_49_tpt_49_halfLds_dp_ip_CI_unitstride_sbrr_dirReg
	.p2align	8
	.type	fft_rtc_fwd_len2401_factors_7_7_7_7_wgs_49_tpt_49_halfLds_dp_ip_CI_unitstride_sbrr_dirReg,@function
fft_rtc_fwd_len2401_factors_7_7_7_7_wgs_49_tpt_49_halfLds_dp_ip_CI_unitstride_sbrr_dirReg: ; @fft_rtc_fwd_len2401_factors_7_7_7_7_wgs_49_tpt_49_halfLds_dp_ip_CI_unitstride_sbrr_dirReg
; %bb.0:
	s_clause 0x2
	s_load_b128 s[4:7], s[0:1], 0x0
	s_load_b64 s[8:9], s[0:1], 0x50
	s_load_b64 s[10:11], s[0:1], 0x18
	v_mul_u32_u24_e32 v1, 0x53a, v0
	v_mov_b32_e32 v3, 0
	v_mov_b32_e32 v4, 0
	s_delay_alu instid0(VALU_DEP_3) | instskip(SKIP_1) | instid1(VALU_DEP_1)
	v_lshrrev_b32_e32 v2, 16, v1
	v_mov_b32_e32 v1, 0
	v_dual_mov_b32 v6, v1 :: v_dual_add_nc_u32 v5, s15, v2
	s_waitcnt lgkmcnt(0)
	v_cmp_lt_u64_e64 s2, s[6:7], 2
	s_delay_alu instid0(VALU_DEP_1)
	s_and_b32 vcc_lo, exec_lo, s2
	s_cbranch_vccnz .LBB0_8
; %bb.1:
	s_load_b64 s[2:3], s[0:1], 0x10
	v_mov_b32_e32 v3, 0
	s_add_u32 s12, s10, 8
	v_mov_b32_e32 v4, 0
	s_addc_u32 s13, s11, 0
	s_mov_b64 s[16:17], 1
	s_waitcnt lgkmcnt(0)
	s_add_u32 s14, s2, 8
	s_addc_u32 s15, s3, 0
.LBB0_2:                                ; =>This Inner Loop Header: Depth=1
	s_load_b64 s[18:19], s[14:15], 0x0
                                        ; implicit-def: $vgpr7_vgpr8
	s_mov_b32 s2, exec_lo
	s_waitcnt lgkmcnt(0)
	v_or_b32_e32 v2, s19, v6
	s_delay_alu instid0(VALU_DEP_1)
	v_cmpx_ne_u64_e32 0, v[1:2]
	s_xor_b32 s3, exec_lo, s2
	s_cbranch_execz .LBB0_4
; %bb.3:                                ;   in Loop: Header=BB0_2 Depth=1
	v_cvt_f32_u32_e32 v2, s18
	v_cvt_f32_u32_e32 v7, s19
	s_sub_u32 s2, 0, s18
	s_subb_u32 s20, 0, s19
	s_delay_alu instid0(VALU_DEP_1) | instskip(NEXT) | instid1(VALU_DEP_1)
	v_fmac_f32_e32 v2, 0x4f800000, v7
	v_rcp_f32_e32 v2, v2
	s_waitcnt_depctr 0xfff
	v_mul_f32_e32 v2, 0x5f7ffffc, v2
	s_delay_alu instid0(VALU_DEP_1) | instskip(NEXT) | instid1(VALU_DEP_1)
	v_mul_f32_e32 v7, 0x2f800000, v2
	v_trunc_f32_e32 v7, v7
	s_delay_alu instid0(VALU_DEP_1) | instskip(SKIP_1) | instid1(VALU_DEP_2)
	v_fmac_f32_e32 v2, 0xcf800000, v7
	v_cvt_u32_f32_e32 v7, v7
	v_cvt_u32_f32_e32 v2, v2
	s_delay_alu instid0(VALU_DEP_2) | instskip(NEXT) | instid1(VALU_DEP_2)
	v_mul_lo_u32 v8, s2, v7
	v_mul_hi_u32 v9, s2, v2
	v_mul_lo_u32 v10, s20, v2
	s_delay_alu instid0(VALU_DEP_2) | instskip(SKIP_1) | instid1(VALU_DEP_2)
	v_add_nc_u32_e32 v8, v9, v8
	v_mul_lo_u32 v9, s2, v2
	v_add_nc_u32_e32 v8, v8, v10
	s_delay_alu instid0(VALU_DEP_2) | instskip(NEXT) | instid1(VALU_DEP_2)
	v_mul_hi_u32 v10, v2, v9
	v_mul_lo_u32 v11, v2, v8
	v_mul_hi_u32 v12, v2, v8
	v_mul_hi_u32 v13, v7, v9
	v_mul_lo_u32 v9, v7, v9
	v_mul_hi_u32 v14, v7, v8
	v_mul_lo_u32 v8, v7, v8
	v_add_co_u32 v10, vcc_lo, v10, v11
	v_add_co_ci_u32_e32 v11, vcc_lo, 0, v12, vcc_lo
	s_delay_alu instid0(VALU_DEP_2) | instskip(NEXT) | instid1(VALU_DEP_2)
	v_add_co_u32 v9, vcc_lo, v10, v9
	v_add_co_ci_u32_e32 v9, vcc_lo, v11, v13, vcc_lo
	v_add_co_ci_u32_e32 v10, vcc_lo, 0, v14, vcc_lo
	s_delay_alu instid0(VALU_DEP_2) | instskip(NEXT) | instid1(VALU_DEP_2)
	v_add_co_u32 v8, vcc_lo, v9, v8
	v_add_co_ci_u32_e32 v9, vcc_lo, 0, v10, vcc_lo
	s_delay_alu instid0(VALU_DEP_2) | instskip(NEXT) | instid1(VALU_DEP_2)
	v_add_co_u32 v2, vcc_lo, v2, v8
	v_add_co_ci_u32_e32 v7, vcc_lo, v7, v9, vcc_lo
	s_delay_alu instid0(VALU_DEP_2) | instskip(SKIP_1) | instid1(VALU_DEP_3)
	v_mul_hi_u32 v8, s2, v2
	v_mul_lo_u32 v10, s20, v2
	v_mul_lo_u32 v9, s2, v7
	s_delay_alu instid0(VALU_DEP_1) | instskip(SKIP_1) | instid1(VALU_DEP_2)
	v_add_nc_u32_e32 v8, v8, v9
	v_mul_lo_u32 v9, s2, v2
	v_add_nc_u32_e32 v8, v8, v10
	s_delay_alu instid0(VALU_DEP_2) | instskip(NEXT) | instid1(VALU_DEP_2)
	v_mul_hi_u32 v10, v2, v9
	v_mul_lo_u32 v11, v2, v8
	v_mul_hi_u32 v12, v2, v8
	v_mul_hi_u32 v13, v7, v9
	v_mul_lo_u32 v9, v7, v9
	v_mul_hi_u32 v14, v7, v8
	v_mul_lo_u32 v8, v7, v8
	v_add_co_u32 v10, vcc_lo, v10, v11
	v_add_co_ci_u32_e32 v11, vcc_lo, 0, v12, vcc_lo
	s_delay_alu instid0(VALU_DEP_2) | instskip(NEXT) | instid1(VALU_DEP_2)
	v_add_co_u32 v9, vcc_lo, v10, v9
	v_add_co_ci_u32_e32 v9, vcc_lo, v11, v13, vcc_lo
	v_add_co_ci_u32_e32 v10, vcc_lo, 0, v14, vcc_lo
	s_delay_alu instid0(VALU_DEP_2) | instskip(NEXT) | instid1(VALU_DEP_2)
	v_add_co_u32 v8, vcc_lo, v9, v8
	v_add_co_ci_u32_e32 v9, vcc_lo, 0, v10, vcc_lo
	s_delay_alu instid0(VALU_DEP_2) | instskip(NEXT) | instid1(VALU_DEP_2)
	v_add_co_u32 v2, vcc_lo, v2, v8
	v_add_co_ci_u32_e32 v13, vcc_lo, v7, v9, vcc_lo
	s_delay_alu instid0(VALU_DEP_2) | instskip(SKIP_1) | instid1(VALU_DEP_3)
	v_mul_hi_u32 v14, v5, v2
	v_mad_u64_u32 v[9:10], null, v6, v2, 0
	v_mad_u64_u32 v[7:8], null, v5, v13, 0
	;; [unrolled: 1-line block ×3, first 2 shown]
	s_delay_alu instid0(VALU_DEP_2) | instskip(NEXT) | instid1(VALU_DEP_3)
	v_add_co_u32 v2, vcc_lo, v14, v7
	v_add_co_ci_u32_e32 v7, vcc_lo, 0, v8, vcc_lo
	s_delay_alu instid0(VALU_DEP_2) | instskip(NEXT) | instid1(VALU_DEP_2)
	v_add_co_u32 v2, vcc_lo, v2, v9
	v_add_co_ci_u32_e32 v2, vcc_lo, v7, v10, vcc_lo
	v_add_co_ci_u32_e32 v7, vcc_lo, 0, v12, vcc_lo
	s_delay_alu instid0(VALU_DEP_2) | instskip(NEXT) | instid1(VALU_DEP_2)
	v_add_co_u32 v2, vcc_lo, v2, v11
	v_add_co_ci_u32_e32 v9, vcc_lo, 0, v7, vcc_lo
	s_delay_alu instid0(VALU_DEP_2) | instskip(SKIP_1) | instid1(VALU_DEP_3)
	v_mul_lo_u32 v10, s19, v2
	v_mad_u64_u32 v[7:8], null, s18, v2, 0
	v_mul_lo_u32 v11, s18, v9
	s_delay_alu instid0(VALU_DEP_2) | instskip(NEXT) | instid1(VALU_DEP_2)
	v_sub_co_u32 v7, vcc_lo, v5, v7
	v_add3_u32 v8, v8, v11, v10
	s_delay_alu instid0(VALU_DEP_1) | instskip(NEXT) | instid1(VALU_DEP_1)
	v_sub_nc_u32_e32 v10, v6, v8
	v_subrev_co_ci_u32_e64 v10, s2, s19, v10, vcc_lo
	v_add_co_u32 v11, s2, v2, 2
	s_delay_alu instid0(VALU_DEP_1) | instskip(SKIP_3) | instid1(VALU_DEP_3)
	v_add_co_ci_u32_e64 v12, s2, 0, v9, s2
	v_sub_co_u32 v13, s2, v7, s18
	v_sub_co_ci_u32_e32 v8, vcc_lo, v6, v8, vcc_lo
	v_subrev_co_ci_u32_e64 v10, s2, 0, v10, s2
	v_cmp_le_u32_e32 vcc_lo, s18, v13
	s_delay_alu instid0(VALU_DEP_3) | instskip(SKIP_1) | instid1(VALU_DEP_4)
	v_cmp_eq_u32_e64 s2, s19, v8
	v_cndmask_b32_e64 v13, 0, -1, vcc_lo
	v_cmp_le_u32_e32 vcc_lo, s19, v10
	v_cndmask_b32_e64 v14, 0, -1, vcc_lo
	v_cmp_le_u32_e32 vcc_lo, s18, v7
	;; [unrolled: 2-line block ×3, first 2 shown]
	v_cndmask_b32_e64 v15, 0, -1, vcc_lo
	v_cmp_eq_u32_e32 vcc_lo, s19, v10
	s_delay_alu instid0(VALU_DEP_2) | instskip(SKIP_3) | instid1(VALU_DEP_3)
	v_cndmask_b32_e64 v7, v15, v7, s2
	v_cndmask_b32_e32 v10, v14, v13, vcc_lo
	v_add_co_u32 v13, vcc_lo, v2, 1
	v_add_co_ci_u32_e32 v14, vcc_lo, 0, v9, vcc_lo
	v_cmp_ne_u32_e32 vcc_lo, 0, v10
	s_delay_alu instid0(VALU_DEP_2) | instskip(NEXT) | instid1(VALU_DEP_4)
	v_cndmask_b32_e32 v8, v14, v12, vcc_lo
	v_cndmask_b32_e32 v10, v13, v11, vcc_lo
	v_cmp_ne_u32_e32 vcc_lo, 0, v7
	s_delay_alu instid0(VALU_DEP_2)
	v_dual_cndmask_b32 v7, v2, v10 :: v_dual_cndmask_b32 v8, v9, v8
.LBB0_4:                                ;   in Loop: Header=BB0_2 Depth=1
	s_and_not1_saveexec_b32 s2, s3
	s_cbranch_execz .LBB0_6
; %bb.5:                                ;   in Loop: Header=BB0_2 Depth=1
	v_cvt_f32_u32_e32 v2, s18
	s_sub_i32 s3, 0, s18
	s_delay_alu instid0(VALU_DEP_1) | instskip(SKIP_2) | instid1(VALU_DEP_1)
	v_rcp_iflag_f32_e32 v2, v2
	s_waitcnt_depctr 0xfff
	v_mul_f32_e32 v2, 0x4f7ffffe, v2
	v_cvt_u32_f32_e32 v2, v2
	s_delay_alu instid0(VALU_DEP_1) | instskip(NEXT) | instid1(VALU_DEP_1)
	v_mul_lo_u32 v7, s3, v2
	v_mul_hi_u32 v7, v2, v7
	s_delay_alu instid0(VALU_DEP_1) | instskip(NEXT) | instid1(VALU_DEP_1)
	v_add_nc_u32_e32 v2, v2, v7
	v_mul_hi_u32 v2, v5, v2
	s_delay_alu instid0(VALU_DEP_1) | instskip(SKIP_1) | instid1(VALU_DEP_2)
	v_mul_lo_u32 v7, v2, s18
	v_add_nc_u32_e32 v8, 1, v2
	v_sub_nc_u32_e32 v7, v5, v7
	s_delay_alu instid0(VALU_DEP_1) | instskip(SKIP_1) | instid1(VALU_DEP_2)
	v_subrev_nc_u32_e32 v9, s18, v7
	v_cmp_le_u32_e32 vcc_lo, s18, v7
	v_dual_cndmask_b32 v7, v7, v9 :: v_dual_cndmask_b32 v2, v2, v8
	s_delay_alu instid0(VALU_DEP_1) | instskip(NEXT) | instid1(VALU_DEP_2)
	v_cmp_le_u32_e32 vcc_lo, s18, v7
	v_add_nc_u32_e32 v8, 1, v2
	s_delay_alu instid0(VALU_DEP_1)
	v_dual_cndmask_b32 v7, v2, v8 :: v_dual_mov_b32 v8, v1
.LBB0_6:                                ;   in Loop: Header=BB0_2 Depth=1
	s_or_b32 exec_lo, exec_lo, s2
	s_load_b64 s[2:3], s[12:13], 0x0
	s_delay_alu instid0(VALU_DEP_1) | instskip(NEXT) | instid1(VALU_DEP_2)
	v_mul_lo_u32 v2, v8, s18
	v_mul_lo_u32 v11, v7, s19
	v_mad_u64_u32 v[9:10], null, v7, s18, 0
	s_add_u32 s16, s16, 1
	s_addc_u32 s17, s17, 0
	s_add_u32 s12, s12, 8
	s_addc_u32 s13, s13, 0
	;; [unrolled: 2-line block ×3, first 2 shown]
	s_delay_alu instid0(VALU_DEP_1) | instskip(SKIP_1) | instid1(VALU_DEP_2)
	v_add3_u32 v2, v10, v11, v2
	v_sub_co_u32 v9, vcc_lo, v5, v9
	v_sub_co_ci_u32_e32 v2, vcc_lo, v6, v2, vcc_lo
	s_waitcnt lgkmcnt(0)
	s_delay_alu instid0(VALU_DEP_2) | instskip(NEXT) | instid1(VALU_DEP_2)
	v_mul_lo_u32 v10, s3, v9
	v_mul_lo_u32 v2, s2, v2
	v_mad_u64_u32 v[5:6], null, s2, v9, v[3:4]
	v_cmp_ge_u64_e64 s2, s[16:17], s[6:7]
	s_delay_alu instid0(VALU_DEP_1) | instskip(NEXT) | instid1(VALU_DEP_2)
	s_and_b32 vcc_lo, exec_lo, s2
	v_add3_u32 v4, v10, v6, v2
	s_delay_alu instid0(VALU_DEP_3)
	v_mov_b32_e32 v3, v5
	s_cbranch_vccnz .LBB0_9
; %bb.7:                                ;   in Loop: Header=BB0_2 Depth=1
	v_dual_mov_b32 v5, v7 :: v_dual_mov_b32 v6, v8
	s_branch .LBB0_2
.LBB0_8:
	v_dual_mov_b32 v8, v6 :: v_dual_mov_b32 v7, v5
.LBB0_9:
	s_lshl_b64 s[2:3], s[6:7], 3
                                        ; implicit-def: $vgpr56_vgpr57
                                        ; implicit-def: $vgpr48_vgpr49
                                        ; implicit-def: $vgpr44_vgpr45
                                        ; implicit-def: $vgpr36_vgpr37
                                        ; implicit-def: $vgpr52_vgpr53
                                        ; implicit-def: $vgpr40_vgpr41
                                        ; implicit-def: $vgpr10_vgpr11
                                        ; implicit-def: $vgpr60_vgpr61
                                        ; implicit-def: $vgpr96_vgpr97
                                        ; implicit-def: $vgpr88_vgpr89
                                        ; implicit-def: $vgpr32_vgpr33
                                        ; implicit-def: $vgpr80_vgpr81
                                        ; implicit-def: $vgpr92_vgpr93
                                        ; implicit-def: $vgpr84_vgpr85
                                        ; implicit-def: $vgpr136_vgpr137
                                        ; implicit-def: $vgpr132_vgpr133
                                        ; implicit-def: $vgpr68_vgpr69
                                        ; implicit-def: $vgpr124_vgpr125
                                        ; implicit-def: $vgpr128_vgpr129
                                        ; implicit-def: $vgpr20_vgpr21
                                        ; implicit-def: $vgpr76_vgpr77
                                        ; implicit-def: $vgpr164_vgpr165
                                        ; implicit-def: $vgpr160_vgpr161
                                        ; implicit-def: $vgpr64_vgpr65
                                        ; implicit-def: $vgpr152_vgpr153
                                        ; implicit-def: $vgpr156_vgpr157
                                        ; implicit-def: $vgpr14_vgpr15
                                        ; implicit-def: $vgpr120_vgpr121
                                        ; implicit-def: $vgpr176_vgpr177
                                        ; implicit-def: $vgpr168_vgpr169
                                        ; implicit-def: $vgpr108_vgpr109
                                        ; implicit-def: $vgpr172_vgpr173
                                        ; implicit-def: $vgpr72_vgpr73
                                        ; implicit-def: $vgpr24_vgpr25
                                        ; implicit-def: $vgpr112_vgpr113
                                        ; implicit-def: $vgpr184_vgpr185
                                        ; implicit-def: $vgpr180_vgpr181
                                        ; implicit-def: $vgpr104_vgpr105
                                        ; implicit-def: $vgpr100_vgpr101
                                        ; implicit-def: $vgpr116_vgpr117
                                        ; implicit-def: $vgpr28_vgpr29
                                        ; implicit-def: $vgpr148_vgpr149
                                        ; implicit-def: $vgpr196_vgpr197
                                        ; implicit-def: $vgpr192_vgpr193
                                        ; implicit-def: $vgpr144_vgpr145
                                        ; implicit-def: $vgpr140_vgpr141
                                        ; implicit-def: $vgpr188_vgpr189
	s_delay_alu instid0(SALU_CYCLE_1)
	s_add_u32 s2, s10, s2
	s_addc_u32 s3, s11, s3
	s_load_b64 s[2:3], s[2:3], 0x0
	s_load_b64 s[0:1], s[0:1], 0x20
	s_waitcnt lgkmcnt(0)
	v_mul_lo_u32 v5, s2, v8
	v_mul_lo_u32 v6, s3, v7
	v_mad_u64_u32 v[1:2], null, s2, v7, v[3:4]
	v_mul_hi_u32 v3, 0x539782a, v0
	v_cmp_gt_u64_e32 vcc_lo, s[0:1], v[7:8]
	s_delay_alu instid0(VALU_DEP_3) | instskip(NEXT) | instid1(VALU_DEP_3)
	v_add3_u32 v2, v6, v2, v5
                                        ; implicit-def: $vgpr6_vgpr7
	v_mul_u32_u24_e32 v3, 49, v3
	s_delay_alu instid0(VALU_DEP_2) | instskip(NEXT) | instid1(VALU_DEP_2)
	v_lshlrev_b64 v[1:2], 4, v[1:2]
	v_sub_nc_u32_e32 v225, v0, v3
	scratch_store_b64 off, v[1:2], off offset:8 ; 8-byte Folded Spill
                                        ; implicit-def: $vgpr2_vgpr3
	s_and_saveexec_b32 s1, vcc_lo
	s_cbranch_execz .LBB0_11
; %bb.10:
	scratch_load_b64 v[2:3], off, off offset:8 ; 8-byte Folded Reload
	v_mov_b32_e32 v226, 0
	s_delay_alu instid0(VALU_DEP_1) | instskip(SKIP_2) | instid1(VALU_DEP_1)
	v_lshlrev_b64 v[0:1], 4, v[225:226]
	s_waitcnt vmcnt(0)
	v_add_co_u32 v2, s0, s8, v2
	v_add_co_ci_u32_e64 v3, s0, s9, v3, s0
	s_delay_alu instid0(VALU_DEP_2) | instskip(NEXT) | instid1(VALU_DEP_1)
	v_add_co_u32 v16, s0, v2, v0
	v_add_co_ci_u32_e64 v17, s0, v3, v1, s0
	s_delay_alu instid0(VALU_DEP_2) | instskip(NEXT) | instid1(VALU_DEP_1)
	v_add_co_u32 v34, s0, 0x1000, v16
	v_add_co_ci_u32_e64 v35, s0, 0, v17, s0
	v_add_co_u32 v36, s0, 0x2000, v16
	s_delay_alu instid0(VALU_DEP_1) | instskip(SKIP_1) | instid1(VALU_DEP_1)
	v_add_co_ci_u32_e64 v37, s0, 0, v17, s0
	v_add_co_u32 v8, s0, 0x4000, v16
	v_add_co_ci_u32_e64 v9, s0, 0, v17, s0
	v_add_co_u32 v42, s0, 0x5000, v16
	s_delay_alu instid0(VALU_DEP_1) | instskip(SKIP_1) | instid1(VALU_DEP_1)
	v_add_co_ci_u32_e64 v43, s0, 0, v17, s0
	;; [unrolled: 5-line block ×3, first 2 shown]
	v_add_co_u32 v46, s0, 0x3000, v16
	v_add_co_ci_u32_e64 v47, s0, 0, v17, s0
	v_add_co_u32 v48, s0, 0x7000, v16
	s_delay_alu instid0(VALU_DEP_1)
	v_add_co_ci_u32_e64 v49, s0, 0, v17, s0
	s_clause 0x17
	global_load_b128 v[0:3], v[16:17], off
	global_load_b128 v[26:29], v[16:17], off offset:784
	global_load_b128 v[138:141], v[36:37], off offset:2784
	;; [unrolled: 1-line block ×23, first 2 shown]
	v_add_co_u32 v16, s0, 0x9000, v16
	s_delay_alu instid0(VALU_DEP_1)
	v_add_co_ci_u32_e64 v17, s0, 0, v17, s0
	s_clause 0x18
	global_load_b128 v[154:157], v[34:35], off offset:3744
	global_load_b128 v[126:129], v[36:37], off offset:432
	;; [unrolled: 1-line block ×25, first 2 shown]
.LBB0_11:
	s_or_b32 exec_lo, exec_lo, s1
	s_waitcnt vmcnt(26)
	v_add_f64 v[198:199], v[146:147], v[186:187]
	v_add_f64 v[223:224], v[186:187], -v[146:147]
	v_add_f64 v[205:206], v[188:189], -v[148:149]
	s_waitcnt vmcnt(12)
	v_add_f64 v[203:204], v[194:195], v[138:139]
	v_add_f64 v[146:147], v[196:197], v[140:141]
	v_add_f64 v[196:197], v[140:141], -v[196:197]
	v_add_f64 v[221:222], v[192:193], -v[144:145]
	v_add_f64 v[239:240], v[148:149], v[188:189]
	v_add_f64 v[231:232], v[138:139], -v[194:195]
	v_add_f64 v[194:195], v[190:191], v[142:143]
	v_add_f64 v[148:149], v[192:193], v[144:145]
	v_add_f64 v[138:139], v[190:191], -v[142:143]
	v_add_f64 v[190:191], v[110:111], v[114:115]
	v_add_f64 v[188:189], v[112:113], v[116:117]
	v_add_f64 v[16:17], v[114:115], -v[110:111]
	v_add_f64 v[114:115], v[116:117], -v[112:113]
	s_waitcnt vmcnt(11)
	v_add_f64 v[192:193], v[182:183], v[98:99]
	v_add_f64 v[110:111], v[184:185], v[100:101]
	v_add_f64 v[98:99], v[98:99], -v[182:183]
	v_add_f64 v[116:117], v[100:101], -v[184:185]
	v_add_f64 v[207:208], v[178:179], v[102:103]
	v_add_f64 v[112:113], v[180:181], v[104:105]
	v_add_f64 v[100:101], v[178:179], -v[102:103]
	v_add_f64 v[102:103], v[180:181], -v[104:105]
	;; [unrolled: 4-line block ×3, first 2 shown]
	s_waitcnt vmcnt(5)
	v_add_f64 v[72:73], v[174:175], v[170:171]
	v_add_f64 v[120:121], v[176:177], v[172:173]
	v_add_f64 v[229:230], v[170:171], -v[174:175]
	v_add_f64 v[209:210], v[172:173], -v[176:177]
	v_add_f64 v[211:212], v[166:167], v[106:107]
	v_add_f64 v[166:167], v[166:167], -v[106:107]
	v_add_f64 v[106:107], v[74:75], v[154:155]
	v_add_f64 v[237:238], v[76:77], v[156:157]
	v_add_f64 v[154:155], v[154:155], -v[74:75]
	v_add_f64 v[74:75], v[156:157], -v[76:77]
	s_waitcnt vmcnt(4)
	v_add_f64 v[156:157], v[164:165], v[152:153]
	v_add_f64 v[76:77], v[152:153], -v[164:165]
	v_add_f64 v[215:216], v[158:159], v[62:63]
	v_add_f64 v[235:236], v[160:161], v[64:65]
	v_add_f64 v[152:153], v[158:159], -v[62:63]
	v_add_f64 v[62:63], v[160:161], -v[64:65]
	v_add_f64 v[64:65], v[82:83], v[126:127]
	v_add_f64 v[233:234], v[84:85], v[128:129]
	v_add_f64 v[126:127], v[126:127], -v[82:83]
	v_add_f64 v[82:83], v[128:129], -v[84:85]
	s_waitcnt vmcnt(3)
	v_add_f64 v[84:85], v[134:135], v[122:123]
	v_add_f64 v[128:129], v[136:137], v[124:125]
	v_add_f64 v[122:123], v[122:123], -v[134:135]
	v_add_f64 v[217:218], v[124:125], -v[136:137]
	v_add_f64 v[219:220], v[130:131], v[66:67]
	v_add_f64 v[134:135], v[132:133], v[68:69]
	v_add_f64 v[130:131], v[130:131], -v[66:67]
	v_add_f64 v[66:67], v[132:133], -v[68:69]
	;; [unrolled: 4-line block ×3, first 2 shown]
	s_waitcnt vmcnt(2)
	v_add_f64 v[90:91], v[94:95], v[78:79]
	v_add_f64 v[164:165], v[96:97], v[80:81]
	v_add_f64 v[136:137], v[78:79], -v[94:95]
	v_add_f64 v[60:61], v[80:81], -v[96:97]
	v_add_f64 v[80:81], v[86:87], v[30:31]
	v_add_f64 v[172:173], v[88:89], v[32:33]
	v_add_f64 v[160:161], v[86:87], -v[30:31]
	v_add_f64 v[78:79], v[88:89], -v[32:33]
	s_waitcnt vmcnt(0)
	v_add_f64 v[32:33], v[54:55], v[38:39]
	v_add_f64 v[176:177], v[56:57], v[40:41]
	v_add_f64 v[174:175], v[38:39], -v[54:55]
	v_add_f64 v[30:31], v[40:41], -v[56:57]
	v_add_f64 v[40:41], v[46:47], v[50:51]
	v_add_f64 v[241:242], v[48:49], v[52:53]
	v_add_f64 v[144:145], v[50:51], -v[46:47]
	v_add_f64 v[38:39], v[52:53], -v[48:49]
	v_add_f64 v[46:47], v[42:43], v[34:35]
	v_add_f64 v[182:183], v[42:43], -v[34:35]
	v_add_f64 v[42:43], v[221:222], -v[196:197]
	;; [unrolled: 1-line block ×3, first 2 shown]
	v_add_f64 v[50:51], v[203:204], v[198:199]
	s_mov_b32 s18, 0xe976ee23
	s_mov_b32 s6, 0x429ad128
	;; [unrolled: 1-line block ×4, first 2 shown]
	v_add_f64 v[184:185], v[44:45], v[36:37]
	v_add_f64 v[34:35], v[44:45], -v[36:37]
	v_add_f64 v[36:37], v[221:222], v[196:197]
	v_add_f64 v[44:45], v[205:206], -v[221:222]
	v_add_f64 v[52:53], v[198:199], -v[194:195]
	;; [unrolled: 1-line block ×3, first 2 shown]
	s_mov_b32 s2, 0xb247c609
	s_mov_b32 s10, 0x37e14327
	;; [unrolled: 1-line block ×8, first 2 shown]
	v_add_f64 v[56:57], v[203:204], -v[198:199]
	s_mov_b32 s0, 0x37c3f68c
	s_mov_b32 s20, 0xaaaaaaaa
	;; [unrolled: 1-line block ×8, first 2 shown]
	v_mad_u32_u24 v140, v225, 56, 0
	v_add_f64 v[92:93], v[102:103], -v[116:117]
	v_add_f64 v[94:95], v[116:117], -v[114:115]
	v_add_f64 v[88:89], v[102:103], v[116:117]
	v_add_f64 v[96:97], v[114:115], -v[102:103]
	v_add_f64 v[170:171], v[168:169], v[108:109]
	v_add_f64 v[108:109], v[168:169], -v[108:109]
	v_add_nc_u32_e32 v187, 0xab8, v140
	v_mul_f64 v[42:43], v[42:43], s[18:19]
	v_mul_f64 v[86:87], v[48:49], s[6:7]
	v_add_f64 v[50:51], v[194:195], v[50:51]
	v_add_nc_u32_e32 v141, 0xac8, v140
	v_add_f64 v[213:214], v[162:163], v[150:151]
	v_lshl_add_u32 v255, v225, 3, 0
	v_add_nc_u32_e32 v169, 0x1580, v140
	v_add_nc_u32_e32 v194, 0x2038, v140
	;; [unrolled: 1-line block ×3, first 2 shown]
	v_add_f64 v[36:37], v[36:37], v[205:206]
	v_add_nc_u32_e32 v168, 0x3800, v255
	v_mul_f64 v[52:53], v[52:53], s[10:11]
	v_add_nc_u32_e32 v196, 0x2ae0, v140
	v_add_nc_u32_e32 v197, 0x2af0, v140
	;; [unrolled: 1-line block ×6, first 2 shown]
	v_add_f64 v[150:151], v[150:151], -v[162:163]
	v_mul_f64 v[92:93], v[92:93], s[18:19]
	v_mul_f64 v[102:103], v[94:95], s[6:7]
	v_add_f64 v[88:89], v[88:89], v[114:115]
	v_fma_f64 v[48:49], v[48:49], s[6:7], -v[42:43]
	v_fma_f64 v[42:43], v[44:45], s[2:3], v[42:43]
	v_fma_f64 v[44:45], v[44:45], s[14:15], -v[86:87]
	v_add_f64 v[0:1], v[0:1], v[50:51]
	v_mul_f64 v[86:87], v[54:55], s[22:23]
	v_fma_f64 v[54:55], v[54:55], s[22:23], v[52:53]
	v_fma_f64 v[52:53], v[56:57], s[16:17], -v[52:53]
	v_fma_f64 v[94:95], v[94:95], s[6:7], -v[92:93]
	v_fma_f64 v[92:93], v[96:97], s[2:3], v[92:93]
	v_fma_f64 v[96:97], v[96:97], s[14:15], -v[102:103]
	v_fma_f64 v[48:49], v[36:37], s[0:1], v[48:49]
	v_fma_f64 v[42:43], v[36:37], s[0:1], v[42:43]
	;; [unrolled: 1-line block ×4, first 2 shown]
	v_fma_f64 v[86:87], v[56:57], s[12:13], -v[86:87]
	s_delay_alu instid0(VALU_DEP_2) | instskip(NEXT) | instid1(VALU_DEP_2)
	v_add_f64 v[50:51], v[54:55], v[44:45]
	v_add_f64 v[54:55], v[86:87], v[44:45]
	;; [unrolled: 1-line block ×3, first 2 shown]
	s_delay_alu instid0(VALU_DEP_3) | instskip(NEXT) | instid1(VALU_DEP_3)
	v_add_f64 v[52:53], v[42:43], v[50:51]
	v_add_f64 v[56:57], v[54:55], -v[48:49]
	s_delay_alu instid0(VALU_DEP_3)
	v_add_f64 v[86:87], v[36:37], v[44:45]
	ds_store_2addr_b64 v140, v[0:1], v[52:53] offset1:1
	ds_store_2addr_b64 v140, v[86:87], v[56:57] offset0:2 offset1:3
	v_add_f64 v[0:1], v[192:193], v[190:191]
	v_add_f64 v[52:53], v[190:191], -v[207:208]
	v_add_f64 v[86:87], v[207:208], -v[192:193]
	;; [unrolled: 1-line block ×3, first 2 shown]
	v_add_nc_u32_e32 v191, 0x1590, v140
	v_add_nc_u32_e32 v193, 0x2028, v140
	;; [unrolled: 1-line block ×3, first 2 shown]
	v_add_f64 v[0:1], v[207:208], v[0:1]
	v_mul_f64 v[52:53], v[52:53], s[10:11]
	v_mul_f64 v[102:103], v[86:87], s[22:23]
	s_delay_alu instid0(VALU_DEP_3) | instskip(NEXT) | instid1(VALU_DEP_3)
	v_add_f64 v[26:27], v[26:27], v[0:1]
	v_fma_f64 v[86:87], v[86:87], s[22:23], v[52:53]
	s_delay_alu instid0(VALU_DEP_3)
	v_fma_f64 v[102:103], v[56:57], s[12:13], -v[102:103]
	v_fma_f64 v[52:53], v[56:57], s[16:17], -v[52:53]
	v_fma_f64 v[56:57], v[88:89], s[0:1], v[92:93]
	v_fma_f64 v[92:93], v[88:89], s[0:1], v[94:95]
	;; [unrolled: 1-line block ×4, first 2 shown]
	s_delay_alu instid0(VALU_DEP_1) | instskip(SKIP_2) | instid1(VALU_DEP_3)
	v_add_f64 v[86:87], v[86:87], v[0:1]
	v_add_f64 v[94:95], v[102:103], v[0:1]
	;; [unrolled: 1-line block ×4, first 2 shown]
	s_delay_alu instid0(VALU_DEP_3) | instskip(NEXT) | instid1(VALU_DEP_3)
	v_add_f64 v[96:97], v[94:95], -v[92:93]
	v_add_f64 v[102:103], v[88:89], v[0:1]
	ds_store_2addr_b64 v187, v[26:27], v[52:53] offset1:1
	ds_store_2addr_b64 v141, v[102:103], v[96:97] offset1:1
	v_add_f64 v[26:27], v[92:93], v[94:95]
	v_add_f64 v[52:53], v[72:73], v[104:105]
	v_add_f64 v[94:95], v[108:109], -v[209:210]
	v_add_f64 v[0:1], v[0:1], -v[88:89]
	;; [unrolled: 1-line block ×3, first 2 shown]
	v_add_f64 v[96:97], v[108:109], v[209:210]
	v_add_f64 v[102:103], v[70:71], -v[108:109]
	v_add_f64 v[92:93], v[211:212], -v[72:73]
	v_add_f64 v[52:53], v[211:212], v[52:53]
	v_mul_f64 v[94:95], v[94:95], s[18:19]
	v_mul_f64 v[88:89], v[88:89], s[10:11]
	v_add_f64 v[96:97], v[96:97], v[70:71]
	s_delay_alu instid0(VALU_DEP_4) | instskip(NEXT) | instid1(VALU_DEP_4)
	v_add_f64 v[108:109], v[22:23], v[52:53]
	v_fma_f64 v[22:23], v[102:103], s[2:3], v[94:95]
	s_delay_alu instid0(VALU_DEP_2) | instskip(NEXT) | instid1(VALU_DEP_2)
	v_fma_f64 v[52:53], v[52:53], s[20:21], v[108:109]
	v_fma_f64 v[114:115], v[96:97], s[0:1], v[22:23]
	;; [unrolled: 1-line block ×3, first 2 shown]
	s_delay_alu instid0(VALU_DEP_1) | instskip(SKIP_2) | instid1(VALU_DEP_3)
	v_add_f64 v[116:117], v[22:23], v[52:53]
	v_add_nc_u32_e32 v22, 0xad8, v140
	v_add_nc_u32_e32 v23, 0x1570, v140
	v_add_f64 v[142:143], v[114:115], v[116:117]
	ds_store_2addr_b64 v22, v[26:27], v[0:1] offset1:1
	ds_store_2addr_b64 v23, v[108:109], v[142:143] offset1:1
	v_add_f64 v[0:1], v[209:210], -v[70:71]
	v_add_f64 v[26:27], v[72:73], -v[104:105]
	v_mul_f64 v[72:73], v[92:93], s[22:23]
	v_mov_b32_e32 v142, v168
	v_add_nc_u32_e32 v192, 0x35c0, v140
	v_fma_f64 v[70:71], v[0:1], s[6:7], -v[94:95]
	v_mul_f64 v[0:1], v[0:1], s[6:7]
	v_fma_f64 v[72:73], v[26:27], s[12:13], -v[72:73]
	v_fma_f64 v[26:27], v[26:27], s[16:17], -v[88:89]
	v_add_f64 v[88:89], v[62:63], -v[76:77]
	v_fma_f64 v[70:71], v[96:97], s[0:1], v[70:71]
	v_fma_f64 v[0:1], v[102:103], s[14:15], -v[0:1]
	v_add_f64 v[72:73], v[72:73], v[52:53]
	v_add_f64 v[26:27], v[26:27], v[52:53]
	s_delay_alu instid0(VALU_DEP_3) | instskip(NEXT) | instid1(VALU_DEP_3)
	v_fma_f64 v[0:1], v[96:97], s[0:1], v[0:1]
	v_add_f64 v[52:53], v[72:73], -v[70:71]
	v_add_f64 v[70:71], v[70:71], v[72:73]
	s_delay_alu instid0(VALU_DEP_3)
	v_add_f64 v[72:73], v[0:1], v[26:27]
	v_add_f64 v[0:1], v[26:27], -v[0:1]
	ds_store_2addr_b64 v169, v[72:73], v[52:53] offset1:1
	ds_store_2addr_b64 v191, v[70:71], v[0:1] offset1:1
	v_add_f64 v[0:1], v[213:214], v[106:107]
	v_add_f64 v[72:73], v[62:63], v[76:77]
	v_add_f64 v[76:77], v[76:77], -v[74:75]
	v_add_f64 v[26:27], v[106:107], -v[215:216]
	;; [unrolled: 1-line block ×5, first 2 shown]
	v_add_f64 v[0:1], v[215:216], v[0:1]
	v_add_f64 v[72:73], v[72:73], v[74:75]
	v_mul_f64 v[74:75], v[88:89], s[18:19]
	v_mul_f64 v[88:89], v[76:77], s[6:7]
	;; [unrolled: 1-line block ×3, first 2 shown]
	v_add_f64 v[12:13], v[12:13], v[0:1]
	s_delay_alu instid0(VALU_DEP_4)
	v_fma_f64 v[76:77], v[76:77], s[6:7], -v[74:75]
	v_fma_f64 v[74:75], v[62:63], s[2:3], v[74:75]
	v_fma_f64 v[62:63], v[62:63], s[14:15], -v[88:89]
	v_mul_f64 v[88:89], v[70:71], s[22:23]
	v_fma_f64 v[70:71], v[70:71], s[22:23], v[26:27]
	v_fma_f64 v[26:27], v[52:53], s[16:17], -v[26:27]
	v_fma_f64 v[0:1], v[0:1], s[20:21], v[12:13]
	v_fma_f64 v[62:63], v[72:73], s[0:1], v[62:63]
	v_fma_f64 v[88:89], v[52:53], s[12:13], -v[88:89]
	v_fma_f64 v[52:53], v[72:73], s[0:1], v[74:75]
	v_fma_f64 v[74:75], v[72:73], s[0:1], v[76:77]
	v_add_f64 v[70:71], v[70:71], v[0:1]
	s_delay_alu instid0(VALU_DEP_4) | instskip(SKIP_1) | instid1(VALU_DEP_3)
	v_add_f64 v[72:73], v[88:89], v[0:1]
	v_add_f64 v[0:1], v[26:27], v[0:1]
	;; [unrolled: 1-line block ×3, first 2 shown]
	s_delay_alu instid0(VALU_DEP_3) | instskip(NEXT) | instid1(VALU_DEP_3)
	v_add_f64 v[76:77], v[72:73], -v[74:75]
	v_add_f64 v[88:89], v[62:63], v[0:1]
	ds_store_2addr_b64 v193, v[12:13], v[26:27] offset1:1
	ds_store_2addr_b64 v194, v[88:89], v[76:77] offset1:1
	v_add_f64 v[26:27], v[84:85], v[64:65]
	v_add_f64 v[0:1], v[0:1], -v[62:63]
	v_add_f64 v[62:63], v[64:65], -v[219:220]
	;; [unrolled: 1-line block ×3, first 2 shown]
	v_add_f64 v[12:13], v[74:75], v[72:73]
	v_add_f64 v[72:73], v[219:220], -v[84:85]
	v_add_f64 v[74:75], v[66:67], v[217:218]
	v_add_f64 v[66:67], v[82:83], -v[66:67]
	v_add_f64 v[26:27], v[219:220], v[26:27]
	v_mul_f64 v[62:63], v[62:63], s[10:11]
	v_mul_f64 v[76:77], v[76:77], s[18:19]
	v_add_f64 v[74:75], v[74:75], v[82:83]
	s_delay_alu instid0(VALU_DEP_4) | instskip(NEXT) | instid1(VALU_DEP_4)
	v_add_f64 v[18:19], v[18:19], v[26:27]
	v_fma_f64 v[88:89], v[72:73], s[22:23], v[62:63]
	s_delay_alu instid0(VALU_DEP_4) | instskip(NEXT) | instid1(VALU_DEP_3)
	v_fma_f64 v[92:93], v[66:67], s[2:3], v[76:77]
	v_fma_f64 v[26:27], v[26:27], s[20:21], v[18:19]
	s_delay_alu instid0(VALU_DEP_2) | instskip(NEXT) | instid1(VALU_DEP_2)
	v_fma_f64 v[92:93], v[74:75], s[0:1], v[92:93]
	v_add_f64 v[88:89], v[88:89], v[26:27]
	s_delay_alu instid0(VALU_DEP_1)
	v_add_f64 v[94:95], v[92:93], v[88:89]
	ds_store_2addr_b64 v195, v[12:13], v[0:1] offset1:1
	ds_store_2addr_b64 v196, v[18:19], v[94:95] offset1:1
	v_add_f64 v[0:1], v[84:85], -v[64:65]
	v_add_f64 v[12:13], v[217:218], -v[82:83]
	v_mul_f64 v[18:19], v[72:73], s[22:23]
	s_delay_alu instid0(VALU_DEP_1) | instskip(SKIP_1) | instid1(VALU_DEP_4)
	v_fma_f64 v[18:19], v[0:1], s[12:13], -v[18:19]
	v_fma_f64 v[0:1], v[0:1], s[16:17], -v[62:63]
	;; [unrolled: 1-line block ×3, first 2 shown]
	v_mul_f64 v[12:13], v[12:13], s[6:7]
	s_delay_alu instid0(VALU_DEP_4) | instskip(NEXT) | instid1(VALU_DEP_4)
	v_add_f64 v[18:19], v[18:19], v[26:27]
	v_add_f64 v[0:1], v[0:1], v[26:27]
	s_delay_alu instid0(VALU_DEP_4) | instskip(NEXT) | instid1(VALU_DEP_4)
	v_fma_f64 v[26:27], v[74:75], s[0:1], v[62:63]
	v_fma_f64 v[12:13], v[66:67], s[14:15], -v[12:13]
	s_delay_alu instid0(VALU_DEP_2) | instskip(NEXT) | instid1(VALU_DEP_2)
	v_add_f64 v[62:63], v[18:19], -v[26:27]
	v_fma_f64 v[12:13], v[74:75], s[0:1], v[12:13]
	v_add_f64 v[18:19], v[26:27], v[18:19]
	s_delay_alu instid0(VALU_DEP_2)
	v_add_f64 v[26:27], v[12:13], v[0:1]
	v_add_f64 v[0:1], v[0:1], -v[12:13]
	ds_store_2addr_b64 v197, v[26:27], v[62:63] offset1:1
	ds_store_2addr_b64 v198, v[18:19], v[0:1] offset1:1
	v_add_f64 v[0:1], v[48:49], v[54:55]
	v_add_f64 v[12:13], v[44:45], -v[36:37]
	v_add_f64 v[18:19], v[50:51], -v[42:43]
	;; [unrolled: 1-line block ×8, first 2 shown]
	v_add_f64 v[52:53], v[78:79], v[60:61]
	v_add_f64 v[54:55], v[78:79], -v[60:61]
	v_add_f64 v[60:61], v[60:61], -v[58:59]
	;; [unrolled: 1-line block ×3, first 2 shown]
	ds_store_2addr_b64 v140, v[0:1], v[12:13] offset0:4 offset1:5
	v_add_f64 v[0:1], v[90:91], v[68:69]
	v_add_f64 v[12:13], v[90:91], -v[68:69]
	ds_store_b64 v140, v[18:19] offset:48
	ds_store_b64 v140, v[42:43] offset:2792
	;; [unrolled: 1-line block ×5, first 2 shown]
	v_mul_f64 v[18:19], v[26:27], s[10:11]
	v_mul_f64 v[26:27], v[36:37], s[22:23]
	v_add_f64 v[52:53], v[52:53], v[58:59]
	v_mul_f64 v[42:43], v[60:61], s[6:7]
	v_add_f64 v[0:1], v[80:81], v[0:1]
	v_fma_f64 v[36:37], v[36:37], s[22:23], v[18:19]
	v_fma_f64 v[18:19], v[12:13], s[16:17], -v[18:19]
	v_fma_f64 v[12:13], v[12:13], s[12:13], -v[26:27]
	v_mul_f64 v[26:27], v[54:55], s[18:19]
	v_fma_f64 v[42:43], v[56:57], s[14:15], -v[42:43]
	v_add_f64 v[4:5], v[4:5], v[0:1]
	s_delay_alu instid0(VALU_DEP_3) | instskip(SKIP_3) | instid1(VALU_DEP_2)
	v_fma_f64 v[44:45], v[56:57], s[2:3], v[26:27]
	v_fma_f64 v[26:27], v[60:61], s[6:7], -v[26:27]
	v_add_nc_u32_e32 v56, 0x3000, v255
	v_fma_f64 v[42:43], v[52:53], s[0:1], v[42:43]
	v_mov_b32_e32 v143, v56
	v_fma_f64 v[0:1], v[0:1], s[20:21], v[4:5]
	ds_store_b64 v140, v[4:5] offset:13720
	v_fma_f64 v[44:45], v[52:53], s[0:1], v[44:45]
	v_add_f64 v[36:37], v[36:37], v[0:1]
	v_add_f64 v[18:19], v[18:19], v[0:1]
	;; [unrolled: 1-line block ×3, first 2 shown]
	v_fma_f64 v[12:13], v[52:53], s[0:1], v[26:27]
	v_add_f64 v[26:27], v[40:41], v[32:33]
	v_add_f64 v[50:51], v[44:45], v[36:37]
	;; [unrolled: 1-line block ×3, first 2 shown]
	s_delay_alu instid0(VALU_DEP_4)
	v_add_f64 v[4:5], v[0:1], -v[12:13]
	v_add_f64 v[0:1], v[12:13], v[0:1]
	v_add_nc_u32_e32 v12, 0x35a0, v140
	v_add_nc_u32_e32 v13, 0x35b0, v140
	v_add_f64 v[26:27], v[46:47], v[26:27]
	ds_store_2addr_b64 v12, v[50:51], v[48:49] offset1:1
	ds_store_2addr_b64 v13, v[4:5], v[0:1] offset1:1
	v_add_f64 v[0:1], v[18:19], -v[42:43]
	v_add_f64 v[4:5], v[36:37], -v[44:45]
	;; [unrolled: 1-line block ×3, first 2 shown]
	v_add_f64 v[8:9], v[8:9], v[26:27]
	v_add_f64 v[36:37], v[34:35], -v[38:39]
	v_add_nc_u32_e32 v45, 0x2800, v255
	v_add_nc_u32_e32 v44, 0x2000, v255
	;; [unrolled: 1-line block ×4, first 2 shown]
	s_delay_alu instid0(VALU_DEP_4) | instskip(NEXT) | instid1(VALU_DEP_4)
	v_dual_mov_b32 v218, v45 :: v_dual_add_nc_u32 v43, 0x2400, v255
	v_mov_b32_e32 v217, v44
	s_delay_alu instid0(VALU_DEP_4) | instskip(NEXT) | instid1(VALU_DEP_4)
	v_mov_b32_e32 v201, v50
	v_mov_b32_e32 v202, v42
	ds_store_2addr_b64 v192, v[0:1], v[4:5] offset1:1
	v_add_f64 v[0:1], v[40:41], -v[32:33]
	ds_store_b64 v140, v[8:9] offset:16464
	v_add_f64 v[4:5], v[32:33], -v[46:47]
	v_add_f64 v[32:33], v[34:35], v[38:39]
	v_add_f64 v[34:35], v[30:31], -v[34:35]
	v_add_f64 v[38:39], v[38:39], -v[30:31]
	v_fma_f64 v[26:27], v[26:27], s[20:21], v[8:9]
	v_mul_f64 v[4:5], v[4:5], s[10:11]
	v_add_f64 v[30:31], v[32:33], v[30:31]
	v_mul_f64 v[32:33], v[18:19], s[22:23]
	s_delay_alu instid0(VALU_DEP_3) | instskip(SKIP_1) | instid1(VALU_DEP_3)
	v_fma_f64 v[18:19], v[18:19], s[22:23], v[4:5]
	v_fma_f64 v[4:5], v[0:1], s[16:17], -v[4:5]
	v_fma_f64 v[0:1], v[0:1], s[12:13], -v[32:33]
	v_mul_f64 v[32:33], v[36:37], s[18:19]
	v_mul_f64 v[36:37], v[38:39], s[6:7]
	v_add_f64 v[18:19], v[18:19], v[26:27]
	v_add_f64 v[4:5], v[4:5], v[26:27]
	;; [unrolled: 1-line block ×3, first 2 shown]
	s_delay_alu instid0(VALU_DEP_4) | instskip(SKIP_2) | instid1(VALU_DEP_1)
	v_fma_f64 v[36:37], v[34:35], s[14:15], -v[36:37]
	v_fma_f64 v[34:35], v[34:35], s[2:3], v[32:33]
	v_fma_f64 v[32:33], v[38:39], s[6:7], -v[32:33]
	v_fma_f64 v[26:27], v[30:31], s[0:1], v[32:33]
	s_delay_alu instid0(VALU_DEP_4) | instskip(NEXT) | instid1(VALU_DEP_4)
	v_fma_f64 v[32:33], v[30:31], s[0:1], v[36:37]
	v_fma_f64 v[30:31], v[30:31], s[0:1], v[34:35]
	s_delay_alu instid0(VALU_DEP_3) | instskip(SKIP_1) | instid1(VALU_DEP_4)
	v_add_f64 v[8:9], v[0:1], -v[26:27]
	v_add_f64 v[0:1], v[26:27], v[0:1]
	v_add_f64 v[26:27], v[32:33], v[4:5]
	s_delay_alu instid0(VALU_DEP_4)
	v_add_f64 v[34:35], v[30:31], v[18:19]
	ds_store_2addr_b64 v199, v[34:35], v[26:27] offset1:1
	ds_store_2addr_b64 v203, v[8:9], v[0:1] offset1:1
	v_add_f64 v[0:1], v[4:5], -v[32:33]
	v_add_f64 v[4:5], v[18:19], -v[30:31]
	v_add_f64 v[8:9], v[112:113], -v[110:111]
	v_add_f64 v[18:19], v[110:111], -v[188:189]
	v_add_f64 v[30:31], v[100:101], -v[98:99]
	v_add_f64 v[32:33], v[16:17], -v[100:101]
	ds_store_2addr_b64 v204, v[0:1], v[4:5] offset1:1
	v_add_f64 v[0:1], v[110:111], v[188:189]
	v_add_f64 v[4:5], v[188:189], -v[112:113]
	v_mul_f64 v[34:35], v[8:9], s[22:23]
	s_waitcnt lgkmcnt(0)
	s_waitcnt_vscnt null, 0x0
	s_barrier
	buffer_gl0_inv
	v_mov_b32_e32 v188, v43
	v_add_f64 v[0:1], v[112:113], v[0:1]
	v_mul_f64 v[4:5], v[4:5], s[10:11]
	v_fma_f64 v[34:35], v[18:19], s[12:13], -v[34:35]
	s_delay_alu instid0(VALU_DEP_3) | instskip(SKIP_1) | instid1(VALU_DEP_4)
	v_add_f64 v[26:27], v[28:29], v[0:1]
	v_add_f64 v[28:29], v[100:101], v[98:99]
	v_fma_f64 v[8:9], v[8:9], s[22:23], v[4:5]
	v_fma_f64 v[4:5], v[18:19], s[16:17], -v[4:5]
	v_mul_f64 v[18:19], v[30:31], s[18:19]
	s_delay_alu instid0(VALU_DEP_4) | instskip(SKIP_1) | instid1(VALU_DEP_1)
	v_add_f64 v[28:29], v[28:29], v[16:17]
	v_add_f64 v[16:17], v[98:99], -v[16:17]
	v_mul_f64 v[30:31], v[16:17], s[6:7]
	s_delay_alu instid0(VALU_DEP_4) | instskip(NEXT) | instid1(VALU_DEP_2)
	v_fma_f64 v[16:17], v[16:17], s[6:7], -v[18:19]
	v_fma_f64 v[30:31], v[32:33], s[14:15], -v[30:31]
	v_fma_f64 v[32:33], v[32:33], s[2:3], v[18:19]
	v_fma_f64 v[18:19], v[0:1], s[20:21], v[26:27]
	s_delay_alu instid0(VALU_DEP_3) | instskip(SKIP_1) | instid1(VALU_DEP_3)
	v_fma_f64 v[209:210], v[28:29], s[0:1], v[30:31]
	v_add_nc_u32_e32 v30, 0x1c00, v255
	v_add_f64 v[0:1], v[8:9], v[18:19]
	v_add_f64 v[207:208], v[4:5], v[18:19]
	v_fma_f64 v[4:5], v[28:29], s[0:1], v[32:33]
	v_add_f64 v[205:206], v[34:35], v[18:19]
	v_fma_f64 v[28:29], v[28:29], s[0:1], v[16:17]
	v_add_nc_u32_e32 v32, 0x800, v255
	v_add_nc_u32_e32 v33, 0x1000, v255
	;; [unrolled: 1-line block ×3, first 2 shown]
	ds_load_b64 v[8:9], v255 offset:18816
	ds_load_2addr_b64 v[34:37], v255 offset1:49
	ds_load_2addr_b64 v[16:19], v32 offset0:38 offset1:87
	ds_load_2addr_b64 v[114:117], v33 offset0:174 offset1:223
	;; [unrolled: 1-line block ×17, first 2 shown]
	v_mov_b32_e32 v200, v31
	ds_load_2addr_b64 v[66:69], v50 offset0:114 offset1:163
	ds_load_2addr_b64 v[62:65], v56 offset0:32 offset1:81
	v_mov_b32_e32 v189, v30
	s_waitcnt lgkmcnt(2)
	scratch_store_b128 off, v[52:55], off offset:20 ; 16-byte Folded Spill
	ds_load_2addr_b64 v[58:61], v190 offset0:206 offset1:255
	ds_load_2addr_b64 v[54:57], v33 offset0:76 offset1:125
	;; [unrolled: 1-line block ×4, first 2 shown]
	s_waitcnt lgkmcnt(0)
	s_waitcnt_vscnt null, 0x0
	s_barrier
	buffer_gl0_inv
	v_add_f64 v[213:214], v[207:208], -v[209:210]
	v_add_f64 v[211:212], v[0:1], -v[4:5]
	v_add_f64 v[0:1], v[4:5], v[0:1]
	v_add_f64 v[215:216], v[28:29], v[205:206]
	ds_store_2addr_b64 v187, v[26:27], v[211:212] offset1:1
	ds_store_2addr_b64 v141, v[213:214], v[215:216] offset1:1
	v_add_f64 v[186:187], v[120:121], v[227:228]
	v_add_f64 v[26:27], v[205:206], -v[28:29]
	v_add_f64 v[28:29], v[209:210], v[207:208]
	v_add_f64 v[205:206], v[227:228], -v[170:171]
	v_add_f64 v[209:210], v[166:167], -v[229:230]
	v_add_f64 v[207:208], v[166:167], v[229:230]
	v_add_f64 v[166:167], v[118:119], -v[166:167]
	v_add_f64 v[186:187], v[170:171], v[186:187]
	v_add_f64 v[170:171], v[170:171], -v[120:121]
	v_mul_f64 v[205:206], v[205:206], s[10:11]
	v_mul_f64 v[209:210], v[209:210], s[18:19]
	v_add_f64 v[207:208], v[207:208], v[118:119]
	v_add_f64 v[24:25], v[24:25], v[186:187]
	s_delay_alu instid0(VALU_DEP_4) | instskip(NEXT) | instid1(VALU_DEP_4)
	v_fma_f64 v[211:212], v[170:171], s[22:23], v[205:206]
	v_fma_f64 v[213:214], v[166:167], s[2:3], v[209:210]
	s_delay_alu instid0(VALU_DEP_3) | instskip(NEXT) | instid1(VALU_DEP_2)
	v_fma_f64 v[186:187], v[186:187], s[20:21], v[24:25]
	v_fma_f64 v[213:214], v[207:208], s[0:1], v[213:214]
	s_delay_alu instid0(VALU_DEP_2) | instskip(NEXT) | instid1(VALU_DEP_1)
	v_add_f64 v[211:212], v[211:212], v[186:187]
	v_add_f64 v[215:216], v[211:212], -v[213:214]
	ds_store_2addr_b64 v22, v[26:27], v[28:29] offset1:1
	ds_store_2addr_b64 v23, v[24:25], v[215:216] offset1:1
	v_add_f64 v[24:25], v[229:230], -v[118:119]
	v_add_f64 v[22:23], v[120:121], -v[227:228]
	v_mul_f64 v[26:27], v[170:171], s[22:23]
	v_add_f64 v[120:121], v[152:153], -v[150:151]
	v_add_f64 v[4:5], v[213:214], v[211:212]
	v_fma_f64 v[28:29], v[24:25], s[6:7], -v[209:210]
	v_mul_f64 v[24:25], v[24:25], s[6:7]
	v_fma_f64 v[26:27], v[22:23], s[12:13], -v[26:27]
	v_fma_f64 v[22:23], v[22:23], s[16:17], -v[205:206]
	s_delay_alu instid0(VALU_DEP_4) | instskip(NEXT) | instid1(VALU_DEP_4)
	v_fma_f64 v[28:29], v[207:208], s[0:1], v[28:29]
	v_fma_f64 v[24:25], v[166:167], s[14:15], -v[24:25]
	s_delay_alu instid0(VALU_DEP_4) | instskip(NEXT) | instid1(VALU_DEP_4)
	v_add_f64 v[26:27], v[26:27], v[186:187]
	v_add_f64 v[22:23], v[22:23], v[186:187]
	s_delay_alu instid0(VALU_DEP_3) | instskip(NEXT) | instid1(VALU_DEP_3)
	v_fma_f64 v[24:25], v[207:208], s[0:1], v[24:25]
	v_add_f64 v[118:119], v[28:29], v[26:27]
	v_add_f64 v[26:27], v[26:27], -v[28:29]
	s_delay_alu instid0(VALU_DEP_3)
	v_add_f64 v[28:29], v[22:23], -v[24:25]
	v_add_f64 v[22:23], v[24:25], v[22:23]
	ds_store_2addr_b64 v169, v[28:29], v[118:119] offset1:1
	ds_store_2addr_b64 v191, v[26:27], v[22:23] offset1:1
	v_add_f64 v[22:23], v[156:157], v[237:238]
	v_add_f64 v[24:25], v[237:238], -v[235:236]
	v_add_f64 v[26:27], v[235:236], -v[156:157]
	v_add_f64 v[118:119], v[152:153], v[150:151]
	v_add_f64 v[28:29], v[156:157], -v[237:238]
	v_add_f64 v[152:153], v[154:155], -v[152:153]
	;; [unrolled: 1-line block ×3, first 2 shown]
	v_add_f64 v[22:23], v[235:236], v[22:23]
	v_mul_f64 v[24:25], v[24:25], s[10:11]
	v_add_f64 v[118:119], v[118:119], v[154:155]
	v_mul_f64 v[154:155], v[26:27], s[22:23]
	s_delay_alu instid0(VALU_DEP_4) | instskip(NEXT) | instid1(VALU_DEP_4)
	v_add_f64 v[14:15], v[14:15], v[22:23]
	v_fma_f64 v[26:27], v[26:27], s[22:23], v[24:25]
	v_fma_f64 v[24:25], v[28:29], s[16:17], -v[24:25]
	s_delay_alu instid0(VALU_DEP_4) | instskip(SKIP_3) | instid1(VALU_DEP_3)
	v_fma_f64 v[154:155], v[28:29], s[12:13], -v[154:155]
	v_mul_f64 v[28:29], v[120:121], s[18:19]
	v_mul_f64 v[120:121], v[150:151], s[6:7]
	v_fma_f64 v[22:23], v[22:23], s[20:21], v[14:15]
	v_fma_f64 v[150:151], v[150:151], s[6:7], -v[28:29]
	v_fma_f64 v[28:29], v[152:153], s[2:3], v[28:29]
	s_delay_alu instid0(VALU_DEP_4) | instskip(NEXT) | instid1(VALU_DEP_4)
	v_fma_f64 v[120:121], v[152:153], s[14:15], -v[120:121]
	v_add_f64 v[26:27], v[26:27], v[22:23]
	v_add_f64 v[152:153], v[154:155], v[22:23]
	;; [unrolled: 1-line block ×3, first 2 shown]
	v_fma_f64 v[24:25], v[118:119], s[0:1], v[28:29]
	v_fma_f64 v[28:29], v[118:119], s[0:1], v[150:151]
	;; [unrolled: 1-line block ×3, first 2 shown]
	s_delay_alu instid0(VALU_DEP_3) | instskip(NEXT) | instid1(VALU_DEP_3)
	v_add_f64 v[120:121], v[26:27], -v[24:25]
	v_add_f64 v[150:151], v[28:29], v[152:153]
	s_delay_alu instid0(VALU_DEP_3)
	v_add_f64 v[154:155], v[22:23], -v[118:119]
	ds_store_2addr_b64 v193, v[14:15], v[120:121] offset1:1
	ds_store_2addr_b64 v194, v[154:155], v[150:151] offset1:1
	v_add_f64 v[14:15], v[152:153], -v[28:29]
	v_add_f64 v[28:29], v[128:129], v[233:234]
	v_add_f64 v[22:23], v[118:119], v[22:23]
	v_add_f64 v[118:119], v[233:234], -v[134:135]
	v_add_f64 v[150:151], v[130:131], -v[122:123]
	;; [unrolled: 1-line block ×3, first 2 shown]
	v_add_f64 v[24:25], v[24:25], v[26:27]
	v_add_nc_u32_e32 v193, 0x126, v225
	v_add_f64 v[28:29], v[134:135], v[28:29]
	v_add_f64 v[134:135], v[130:131], v[122:123]
	v_mul_f64 v[118:119], v[118:119], s[10:11]
	v_add_f64 v[130:131], v[126:127], -v[130:131]
	v_mul_f64 v[150:151], v[150:151], s[18:19]
	v_add_f64 v[20:21], v[20:21], v[28:29]
	v_add_f64 v[134:135], v[134:135], v[126:127]
	v_fma_f64 v[152:153], v[120:121], s[22:23], v[118:119]
	s_delay_alu instid0(VALU_DEP_4) | instskip(NEXT) | instid1(VALU_DEP_4)
	v_fma_f64 v[154:155], v[130:131], s[2:3], v[150:151]
	v_fma_f64 v[28:29], v[28:29], s[20:21], v[20:21]
	s_delay_alu instid0(VALU_DEP_2) | instskip(NEXT) | instid1(VALU_DEP_2)
	v_fma_f64 v[154:155], v[134:135], s[0:1], v[154:155]
	v_add_f64 v[152:153], v[152:153], v[28:29]
	s_delay_alu instid0(VALU_DEP_1)
	v_add_f64 v[156:157], v[152:153], -v[154:155]
	ds_store_2addr_b64 v195, v[14:15], v[22:23] offset1:1
	ds_store_2addr_b64 v196, v[20:21], v[156:157] offset1:1
	v_add_f64 v[14:15], v[128:129], -v[233:234]
	v_add_f64 v[20:21], v[122:123], -v[126:127]
	v_mul_f64 v[22:23], v[120:121], s[22:23]
	v_add_f64 v[120:121], v[138:139], -v[231:232]
	v_add_f64 v[126:127], v[231:232], -v[223:224]
	;; [unrolled: 1-line block ×3, first 2 shown]
	v_add_f64 v[26:27], v[154:155], v[152:153]
	v_fma_f64 v[22:23], v[14:15], s[12:13], -v[22:23]
	v_fma_f64 v[14:15], v[14:15], s[16:17], -v[118:119]
	;; [unrolled: 1-line block ×3, first 2 shown]
	v_mul_f64 v[20:21], v[20:21], s[6:7]
	s_delay_alu instid0(VALU_DEP_4) | instskip(NEXT) | instid1(VALU_DEP_4)
	v_add_f64 v[22:23], v[22:23], v[28:29]
	v_add_f64 v[14:15], v[14:15], v[28:29]
	s_delay_alu instid0(VALU_DEP_4) | instskip(NEXT) | instid1(VALU_DEP_4)
	v_fma_f64 v[28:29], v[134:135], s[0:1], v[118:119]
	v_fma_f64 v[20:21], v[130:131], s[14:15], -v[20:21]
	s_delay_alu instid0(VALU_DEP_2) | instskip(NEXT) | instid1(VALU_DEP_2)
	v_add_f64 v[118:119], v[28:29], v[22:23]
	v_fma_f64 v[20:21], v[134:135], s[0:1], v[20:21]
	v_add_f64 v[22:23], v[22:23], -v[28:29]
	s_delay_alu instid0(VALU_DEP_2)
	v_add_f64 v[28:29], v[14:15], -v[20:21]
	v_add_f64 v[14:15], v[20:21], v[14:15]
	ds_store_2addr_b64 v197, v[28:29], v[118:119] offset1:1
	ds_store_2addr_b64 v198, v[22:23], v[14:15] offset1:1
	v_add_f64 v[14:15], v[146:147], v[239:240]
	v_add_f64 v[20:21], v[239:240], -v[148:149]
	v_add_f64 v[22:23], v[148:149], -v[146:147]
	;; [unrolled: 1-line block ×3, first 2 shown]
	v_add_f64 v[118:119], v[138:139], v[231:232]
	v_add_nc_u16 v138, v225, 0x62
	v_add_f64 v[14:15], v[148:149], v[14:15]
	v_mul_f64 v[20:21], v[20:21], s[10:11]
	v_mul_f64 v[128:129], v[22:23], s[22:23]
	v_add_f64 v[118:119], v[118:119], v[223:224]
	s_delay_alu instid0(VALU_DEP_4) | instskip(NEXT) | instid1(VALU_DEP_4)
	v_add_f64 v[2:3], v[2:3], v[14:15]
	v_fma_f64 v[22:23], v[22:23], s[22:23], v[20:21]
	s_delay_alu instid0(VALU_DEP_4) | instskip(SKIP_4) | instid1(VALU_DEP_2)
	v_fma_f64 v[128:129], v[28:29], s[12:13], -v[128:129]
	v_fma_f64 v[20:21], v[28:29], s[16:17], -v[20:21]
	v_mul_f64 v[28:29], v[120:121], s[18:19]
	v_mul_f64 v[120:121], v[126:127], s[6:7]
	v_fma_f64 v[14:15], v[14:15], s[20:21], v[2:3]
	v_fma_f64 v[120:121], v[122:123], s[14:15], -v[120:121]
	s_delay_alu instid0(VALU_DEP_4) | instskip(SKIP_1) | instid1(VALU_DEP_4)
	v_fma_f64 v[122:123], v[122:123], s[2:3], v[28:29]
	v_fma_f64 v[28:29], v[126:127], s[6:7], -v[28:29]
	v_add_f64 v[22:23], v[22:23], v[14:15]
	v_add_f64 v[126:127], v[128:129], v[14:15]
	;; [unrolled: 1-line block ×3, first 2 shown]
	v_fma_f64 v[120:121], v[118:119], s[0:1], v[120:121]
	v_fma_f64 v[20:21], v[118:119], s[0:1], v[122:123]
	;; [unrolled: 1-line block ×3, first 2 shown]
	s_delay_alu instid0(VALU_DEP_3) | instskip(NEXT) | instid1(VALU_DEP_3)
	v_add_f64 v[122:123], v[14:15], -v[120:121]
	v_add_f64 v[118:119], v[22:23], -v[20:21]
	s_delay_alu instid0(VALU_DEP_3)
	v_add_f64 v[128:129], v[28:29], v[126:127]
	ds_store_2addr_b64 v140, v[2:3], v[118:119] offset1:1
	ds_store_2addr_b64 v140, v[122:123], v[128:129] offset0:2 offset1:3
	v_add_f64 v[2:3], v[126:127], -v[28:29]
	v_add_f64 v[14:15], v[120:121], v[14:15]
	v_add_f64 v[20:21], v[20:21], v[22:23]
	v_add_f64 v[22:23], v[132:133], -v[172:173]
	v_add_f64 v[28:29], v[172:173], -v[164:165]
	;; [unrolled: 1-line block ×4, first 2 shown]
	v_add_f64 v[118:119], v[160:161], v[136:137]
	v_add_f64 v[122:123], v[124:125], -v[160:161]
	ds_store_2addr_b64 v140, v[2:3], v[14:15] offset0:4 offset1:5
	v_add_f64 v[2:3], v[164:165], v[132:133]
	v_add_f64 v[14:15], v[164:165], -v[132:133]
	ds_store_b64 v140, v[20:21] offset:48
	ds_store_b64 v140, v[0:1] offset:2792
	;; [unrolled: 1-line block ×5, first 2 shown]
	v_mul_f64 v[0:1], v[22:23], s[10:11]
	v_mul_f64 v[4:5], v[28:29], s[22:23]
	;; [unrolled: 1-line block ×3, first 2 shown]
	v_add_f64 v[118:119], v[118:119], v[124:125]
	v_add_f64 v[2:3], v[172:173], v[2:3]
	v_fma_f64 v[20:21], v[28:29], s[22:23], v[0:1]
	v_fma_f64 v[0:1], v[14:15], s[16:17], -v[0:1]
	v_fma_f64 v[4:5], v[14:15], s[12:13], -v[4:5]
	v_mul_f64 v[14:15], v[120:121], s[18:19]
	v_fma_f64 v[22:23], v[122:123], s[14:15], -v[22:23]
	v_add_f64 v[6:7], v[6:7], v[2:3]
	s_delay_alu instid0(VALU_DEP_3) | instskip(SKIP_1) | instid1(VALU_DEP_3)
	v_fma_f64 v[24:25], v[122:123], s[2:3], v[14:15]
	v_fma_f64 v[14:15], v[126:127], s[6:7], -v[14:15]
	v_fma_f64 v[2:3], v[2:3], s[20:21], v[6:7]
	ds_store_b64 v140, v[6:7] offset:13720
	v_fma_f64 v[14:15], v[118:119], s[0:1], v[14:15]
	v_add_f64 v[20:21], v[20:21], v[2:3]
	v_add_f64 v[0:1], v[0:1], v[2:3]
	v_add_f64 v[2:3], v[4:5], v[2:3]
	v_fma_f64 v[4:5], v[118:119], s[0:1], v[22:23]
	v_fma_f64 v[22:23], v[118:119], s[0:1], v[24:25]
	v_add_f64 v[24:25], v[241:242], v[176:177]
	s_delay_alu instid0(VALU_DEP_4)
	v_add_f64 v[6:7], v[14:15], v[2:3]
	v_add_f64 v[2:3], v[2:3], -v[14:15]
	v_add_f64 v[14:15], v[0:1], -v[4:5]
	;; [unrolled: 1-line block ×3, first 2 shown]
	v_add_f64 v[24:25], v[184:185], v[24:25]
	ds_store_2addr_b64 v12, v[26:27], v[14:15] offset1:1
	ds_store_2addr_b64 v13, v[6:7], v[2:3] offset1:1
	v_add_f64 v[0:1], v[4:5], v[0:1]
	v_add_f64 v[2:3], v[22:23], v[20:21]
	;; [unrolled: 1-line block ×3, first 2 shown]
	v_add_f64 v[4:5], v[184:185], -v[241:242]
	v_add_f64 v[12:13], v[182:183], -v[144:145]
	;; [unrolled: 1-line block ×3, first 2 shown]
	v_add_f64 v[6:7], v[182:183], v[144:145]
	v_add_f64 v[14:15], v[174:175], -v[182:183]
	v_mov_b32_e32 v26, v33
	ds_store_2addr_b64 v192, v[0:1], v[2:3] offset1:1
	ds_store_b64 v140, v[10:11] offset:16464
	v_add_f64 v[2:3], v[176:177], -v[184:185]
	v_add_f64 v[0:1], v[241:242], -v[176:177]
	v_mul_f64 v[22:23], v[4:5], s[22:23]
	v_mul_f64 v[12:13], v[12:13], s[18:19]
	v_add_f64 v[6:7], v[6:7], v[174:175]
	v_fma_f64 v[10:11], v[24:25], s[20:21], v[10:11]
	v_add_nc_u16 v140, v225, 0x93
	v_mul_f64 v[2:3], v[2:3], s[10:11]
	s_delay_alu instid0(VALU_DEP_1)
	v_fma_f64 v[4:5], v[4:5], s[22:23], v[2:3]
	v_fma_f64 v[2:3], v[0:1], s[16:17], -v[2:3]
	v_fma_f64 v[0:1], v[0:1], s[12:13], -v[22:23]
	v_mul_f64 v[22:23], v[20:21], s[6:7]
	v_fma_f64 v[20:21], v[20:21], s[6:7], -v[12:13]
	v_fma_f64 v[12:13], v[14:15], s[2:3], v[12:13]
	v_add_f64 v[4:5], v[4:5], v[10:11]
	v_add_f64 v[2:3], v[2:3], v[10:11]
	;; [unrolled: 1-line block ×3, first 2 shown]
	v_fma_f64 v[22:23], v[14:15], s[14:15], -v[22:23]
	v_fma_f64 v[10:11], v[6:7], s[0:1], v[20:21]
	s_delay_alu instid0(VALU_DEP_2) | instskip(SKIP_1) | instid1(VALU_DEP_3)
	v_fma_f64 v[14:15], v[6:7], s[0:1], v[22:23]
	v_fma_f64 v[6:7], v[6:7], s[0:1], v[12:13]
	v_add_f64 v[12:13], v[10:11], v[0:1]
	v_add_f64 v[0:1], v[0:1], -v[10:11]
	s_delay_alu instid0(VALU_DEP_4) | instskip(NEXT) | instid1(VALU_DEP_4)
	v_add_f64 v[10:11], v[2:3], -v[14:15]
	v_add_f64 v[20:21], v[4:5], -v[6:7]
	ds_store_2addr_b64 v199, v[20:21], v[10:11] offset1:1
	ds_store_2addr_b64 v203, v[12:13], v[0:1] offset1:1
	v_add_f64 v[0:1], v[14:15], v[2:3]
	v_add_f64 v[2:3], v[6:7], v[4:5]
	ds_store_2addr_b64 v204, v[0:1], v[2:3] offset1:1
	v_and_b32_e32 v0, 0xff, v225
	s_waitcnt lgkmcnt(0)
	s_barrier
	buffer_gl0_inv
	ds_load_2addr_b64 v[4:7], v33 offset0:174 offset1:223
	v_mul_lo_u16 v0, v0, 37
	s_delay_alu instid0(VALU_DEP_1) | instskip(NEXT) | instid1(VALU_DEP_1)
	v_lshrrev_b16 v0, 8, v0
	v_sub_nc_u16 v1, v225, v0
	s_delay_alu instid0(VALU_DEP_1) | instskip(NEXT) | instid1(VALU_DEP_1)
	v_lshrrev_b16 v1, 1, v1
	v_and_b32_e32 v1, 0x7f, v1
	s_delay_alu instid0(VALU_DEP_1) | instskip(NEXT) | instid1(VALU_DEP_1)
	v_add_nc_u16 v0, v1, v0
	v_lshrrev_b16 v25, 2, v0
	s_delay_alu instid0(VALU_DEP_1) | instskip(NEXT) | instid1(VALU_DEP_1)
	v_mul_lo_u16 v0, v25, 7
	v_sub_nc_u16 v0, v225, v0
	s_delay_alu instid0(VALU_DEP_1) | instskip(NEXT) | instid1(VALU_DEP_1)
	v_and_b32_e32 v139, 0xff, v0
	v_mul_u32_u24_e32 v0, 6, v139
	s_delay_alu instid0(VALU_DEP_1)
	v_lshlrev_b32_e32 v12, 4, v0
	s_clause 0x1
	global_load_b128 v[0:3], v12, s[4:5] offset:16
	global_load_b128 v[20:23], v12, s[4:5]
	s_waitcnt vmcnt(1) lgkmcnt(0)
	v_mul_f64 v[10:11], v[4:5], v[2:3]
	v_mul_f64 v[2:3], v[114:115], v[2:3]
	s_delay_alu instid0(VALU_DEP_2) | instskip(NEXT) | instid1(VALU_DEP_2)
	v_fma_f64 v[221:222], v[114:115], v[0:1], -v[10:11]
	v_fma_f64 v[186:187], v[4:5], v[0:1], v[2:3]
	v_add_nc_u16 v0, v225, 49
	s_delay_alu instid0(VALU_DEP_1) | instskip(NEXT) | instid1(VALU_DEP_1)
	v_and_b32_e32 v1, 0xff, v0
	v_mul_lo_u16 v1, v1, 37
	s_delay_alu instid0(VALU_DEP_1) | instskip(NEXT) | instid1(VALU_DEP_1)
	v_lshrrev_b16 v1, 8, v1
	v_sub_nc_u16 v2, v0, v1
	s_delay_alu instid0(VALU_DEP_1) | instskip(NEXT) | instid1(VALU_DEP_1)
	v_lshrrev_b16 v2, 1, v2
	v_and_b32_e32 v2, 0x7f, v2
	s_delay_alu instid0(VALU_DEP_1) | instskip(NEXT) | instid1(VALU_DEP_1)
	v_add_nc_u16 v1, v2, v1
	v_lshrrev_b16 v141, 2, v1
	s_delay_alu instid0(VALU_DEP_1) | instskip(NEXT) | instid1(VALU_DEP_1)
	v_mul_lo_u16 v1, v141, 7
	v_sub_nc_u16 v0, v0, v1
	s_delay_alu instid0(VALU_DEP_1) | instskip(NEXT) | instid1(VALU_DEP_1)
	v_and_b32_e32 v147, 0xff, v0
	v_mul_u32_u24_e32 v0, 6, v147
	s_delay_alu instid0(VALU_DEP_1)
	v_lshlrev_b32_e32 v24, 4, v0
	s_clause 0x2
	global_load_b128 v[2:5], v24, s[4:5] offset:16
	global_load_b128 v[118:121], v24, s[4:5]
	global_load_b128 v[148:151], v12, s[4:5] offset:32
	s_waitcnt vmcnt(2)
	v_mul_f64 v[0:1], v[6:7], v[4:5]
	s_delay_alu instid0(VALU_DEP_1)
	v_fma_f64 v[249:250], v[116:117], v[2:3], -v[0:1]
	v_mul_f64 v[0:1], v[116:117], v[4:5]
	ds_load_2addr_b64 v[114:117], v218 offset0:92 offset1:141
	v_fma_f64 v[176:177], v[6:7], v[2:3], v[0:1]
	s_clause 0x2
	global_load_b128 v[4:7], v12, s[4:5] offset:48
	global_load_b128 v[122:125], v24, s[4:5] offset:48
	;; [unrolled: 1-line block ×3, first 2 shown]
	v_mov_b32_e32 v3, v142
	s_waitcnt vmcnt(2) lgkmcnt(0)
	v_mul_f64 v[0:1], v[114:115], v[6:7]
	s_delay_alu instid0(VALU_DEP_1) | instskip(SKIP_1) | instid1(VALU_DEP_1)
	v_fma_f64 v[154:155], v[110:111], v[4:5], -v[0:1]
	v_mul_f64 v[0:1], v[110:111], v[6:7]
	v_fma_f64 v[156:157], v[114:115], v[4:5], v[0:1]
	s_waitcnt vmcnt(1)
	v_mul_f64 v[0:1], v[116:117], v[124:125]
	s_delay_alu instid0(VALU_DEP_1)
	v_fma_f64 v[114:115], v[112:113], v[122:123], -v[0:1]
	v_mul_f64 v[0:1], v[112:113], v[124:125]
	s_clause 0x1
	global_load_b128 v[110:113], v12, s[4:5] offset:80
	global_load_b128 v[227:230], v12, s[4:5] offset:64
	ds_load_2addr_b64 v[12:15], v190 offset0:10 offset1:59
	v_fma_f64 v[126:127], v[116:117], v[122:123], v[0:1]
	s_waitcnt vmcnt(1) lgkmcnt(0)
	v_mul_f64 v[0:1], v[12:13], v[112:113]
	s_delay_alu instid0(VALU_DEP_1) | instskip(SKIP_1) | instid1(VALU_DEP_1)
	v_fma_f64 v[136:137], v[106:107], v[110:111], -v[0:1]
	v_mul_f64 v[0:1], v[106:107], v[112:113]
	v_fma_f64 v[12:13], v[12:13], v[110:111], v[0:1]
	s_clause 0x1
	global_load_b128 v[110:113], v24, s[4:5] offset:80
	global_load_b128 v[122:125], v24, s[4:5] offset:64
	v_mov_b32_e32 v24, v32
	s_waitcnt vmcnt(1)
	v_mul_f64 v[0:1], v[14:15], v[112:113]
	s_delay_alu instid0(VALU_DEP_1)
	v_fma_f64 v[144:145], v[108:109], v[110:111], -v[0:1]
	v_mul_f64 v[0:1], v[108:109], v[112:113]
	ds_load_2addr_b64 v[106:109], v32 offset0:136 offset1:185
	v_fma_f64 v[174:175], v[14:15], v[110:111], v[0:1]
	s_waitcnt lgkmcnt(0)
	v_mul_f64 v[0:1], v[106:107], v[120:121]
	v_dual_mov_b32 v14, v143 :: v_dual_mov_b32 v15, v200
	s_delay_alu instid0(VALU_DEP_2) | instskip(SKIP_1) | instid1(VALU_DEP_1)
	v_fma_f64 v[30:31], v[102:103], v[118:119], -v[0:1]
	v_mul_f64 v[0:1], v[102:103], v[120:121]
	v_fma_f64 v[32:33], v[106:107], v[118:119], v[0:1]
	v_and_b32_e32 v0, 0xff, v138
	s_delay_alu instid0(VALU_DEP_1) | instskip(NEXT) | instid1(VALU_DEP_1)
	v_mul_lo_u16 v0, v0, 37
	v_lshrrev_b16 v0, 8, v0
	s_delay_alu instid0(VALU_DEP_1) | instskip(NEXT) | instid1(VALU_DEP_1)
	v_sub_nc_u16 v1, v138, v0
	v_lshrrev_b16 v1, 1, v1
	s_delay_alu instid0(VALU_DEP_1) | instskip(NEXT) | instid1(VALU_DEP_1)
	v_and_b32_e32 v1, 0x7f, v1
	v_add_nc_u16 v0, v1, v0
	s_delay_alu instid0(VALU_DEP_1) | instskip(NEXT) | instid1(VALU_DEP_1)
	v_lshrrev_b16 v106, 2, v0
	v_mul_lo_u16 v0, v106, 7
	s_delay_alu instid0(VALU_DEP_1) | instskip(NEXT) | instid1(VALU_DEP_1)
	v_sub_nc_u16 v0, v138, v0
	v_and_b32_e32 v107, 0xff, v0
	s_delay_alu instid0(VALU_DEP_1) | instskip(NEXT) | instid1(VALU_DEP_1)
	v_mul_u32_u24_e32 v0, 6, v107
	v_lshlrev_b32_e32 v2, 4, v0
	s_clause 0x1
	global_load_b128 v[110:113], v2, s[4:5]
	global_load_b128 v[116:119], v2, s[4:5] offset:16
	s_waitcnt vmcnt(1)
	v_mul_f64 v[0:1], v[108:109], v[112:113]
	s_delay_alu instid0(VALU_DEP_1)
	v_fma_f64 v[158:159], v[104:105], v[110:111], -v[0:1]
	v_mul_f64 v[0:1], v[104:105], v[112:113]
	ds_load_2addr_b64 v[102:105], v217 offset0:54 offset1:103
	v_fma_f64 v[213:214], v[108:109], v[110:111], v[0:1]
	s_clause 0x1
	global_load_b128 v[108:111], v2, s[4:5] offset:32
	global_load_b128 v[132:135], v2, s[4:5] offset:48
	s_waitcnt lgkmcnt(0)
	v_mul_f64 v[0:1], v[102:103], v[130:131]
	s_delay_alu instid0(VALU_DEP_1) | instskip(SKIP_1) | instid1(VALU_DEP_1)
	v_fma_f64 v[198:199], v[98:99], v[128:129], -v[0:1]
	v_mul_f64 v[0:1], v[98:99], v[130:131]
	v_fma_f64 v[170:171], v[102:103], v[128:129], v[0:1]
	s_waitcnt vmcnt(1)
	v_mul_f64 v[0:1], v[104:105], v[110:111]
	s_delay_alu instid0(VALU_DEP_1)
	v_fma_f64 v[130:131], v[100:101], v[108:109], -v[0:1]
	v_mul_f64 v[0:1], v[100:101], v[110:111]
	ds_load_2addr_b64 v[98:101], v200 offset0:100 offset1:149
	v_fma_f64 v[168:169], v[104:105], v[108:109], v[0:1]
	s_clause 0x1
	global_load_b128 v[102:105], v2, s[4:5] offset:64
	global_load_b128 v[108:111], v2, s[4:5] offset:80
	s_waitcnt lgkmcnt(0)
	v_mul_f64 v[0:1], v[98:99], v[124:125]
	s_delay_alu instid0(VALU_DEP_1) | instskip(SKIP_1) | instid1(VALU_DEP_1)
	v_fma_f64 v[164:165], v[94:95], v[122:123], -v[0:1]
	v_mul_f64 v[0:1], v[94:95], v[124:125]
	v_fma_f64 v[160:161], v[98:99], v[122:123], v[0:1]
	s_waitcnt vmcnt(1)
	v_mul_f64 v[0:1], v[100:101], v[104:105]
	s_delay_alu instid0(VALU_DEP_1)
	v_fma_f64 v[194:195], v[96:97], v[102:103], -v[0:1]
	v_mul_f64 v[0:1], v[96:97], v[104:105]
	ds_load_2addr_b64 v[94:97], v201 offset0:16 offset1:65
	v_fma_f64 v[196:197], v[100:101], v[102:103], v[0:1]
	s_waitcnt lgkmcnt(0)
	v_mul_f64 v[0:1], v[94:95], v[118:119]
	s_delay_alu instid0(VALU_DEP_1) | instskip(SKIP_1) | instid1(VALU_DEP_1)
	v_fma_f64 v[203:204], v[90:91], v[116:117], -v[0:1]
	v_mul_f64 v[0:1], v[90:91], v[118:119]
	v_fma_f64 v[207:208], v[94:95], v[116:117], v[0:1]
	v_and_b32_e32 v0, 0xff, v140
	s_delay_alu instid0(VALU_DEP_1) | instskip(NEXT) | instid1(VALU_DEP_1)
	v_mul_lo_u16 v0, v0, 37
	v_lshrrev_b16 v0, 8, v0
	s_delay_alu instid0(VALU_DEP_1) | instskip(NEXT) | instid1(VALU_DEP_1)
	v_sub_nc_u16 v1, v140, v0
	v_lshrrev_b16 v1, 1, v1
	s_delay_alu instid0(VALU_DEP_1) | instskip(NEXT) | instid1(VALU_DEP_1)
	v_and_b32_e32 v1, 0x7f, v1
	v_add_nc_u16 v0, v1, v0
	s_delay_alu instid0(VALU_DEP_1) | instskip(NEXT) | instid1(VALU_DEP_1)
	v_lshrrev_b16 v90, 2, v0
	v_mul_lo_u16 v0, v90, 7
	s_delay_alu instid0(VALU_DEP_1) | instskip(NEXT) | instid1(VALU_DEP_1)
	v_sub_nc_u16 v0, v140, v0
	v_and_b32_e32 v91, 0xff, v0
	s_delay_alu instid0(VALU_DEP_1) | instskip(NEXT) | instid1(VALU_DEP_1)
	v_mul_u32_u24_e32 v0, 6, v91
	v_lshlrev_b32_e32 v2, 4, v0
	s_clause 0x1
	global_load_b128 v[98:101], v2, s[4:5] offset:16
	global_load_b128 v[102:105], v2, s[4:5]
	s_waitcnt vmcnt(1)
	v_mul_f64 v[0:1], v[96:97], v[100:101]
	s_delay_alu instid0(VALU_DEP_1)
	v_fma_f64 v[122:123], v[92:93], v[98:99], -v[0:1]
	v_mul_f64 v[0:1], v[92:93], v[100:101]
	ds_load_2addr_b64 v[92:95], v218 offset0:190 offset1:239
	v_fma_f64 v[128:129], v[96:97], v[98:99], v[0:1]
	s_clause 0x1
	global_load_b128 v[96:99], v2, s[4:5] offset:48
	global_load_b128 v[116:119], v2, s[4:5] offset:32
	s_waitcnt lgkmcnt(0)
	v_mul_f64 v[0:1], v[92:93], v[134:135]
	s_delay_alu instid0(VALU_DEP_1) | instskip(SKIP_2) | instid1(VALU_DEP_2)
	v_fma_f64 v[233:234], v[86:87], v[132:133], -v[0:1]
	v_mul_f64 v[0:1], v[86:87], v[134:135]
	v_dual_mov_b32 v134, v202 :: v_dual_mov_b32 v135, v188
	v_fma_f64 v[231:232], v[92:93], v[132:133], v[0:1]
	s_waitcnt vmcnt(1)
	v_mul_f64 v[0:1], v[94:95], v[98:99]
	s_delay_alu instid0(VALU_DEP_1)
	v_fma_f64 v[112:113], v[88:89], v[96:97], -v[0:1]
	v_mul_f64 v[0:1], v[88:89], v[98:99]
	ds_load_2addr_b64 v[86:89], v190 offset0:108 offset1:157
	v_fma_f64 v[162:163], v[94:95], v[96:97], v[0:1]
	s_waitcnt lgkmcnt(0)
	v_mul_f64 v[0:1], v[86:87], v[110:111]
	s_delay_alu instid0(VALU_DEP_1) | instskip(SKIP_1) | instid1(VALU_DEP_1)
	v_fma_f64 v[132:133], v[82:83], v[108:109], -v[0:1]
	v_mul_f64 v[0:1], v[82:83], v[110:111]
	v_fma_f64 v[243:244], v[86:87], v[108:109], v[0:1]
	v_dual_mov_b32 v108, v213 :: v_dual_mov_b32 v109, v214
	v_dual_mov_b32 v214, v113 :: v_dual_mov_b32 v213, v112
	scratch_store_b64 off, v[243:244], off offset:252 ; 8-byte Folded Spill
	s_clause 0x1
	global_load_b128 v[92:95], v2, s[4:5] offset:80
	global_load_b128 v[96:99], v2, s[4:5] offset:64
	v_add_nc_u32_e32 v2, 0xc4, v225
	scratch_store_b32 off, v2, off offset:4 ; 4-byte Folded Spill
	s_waitcnt vmcnt(1)
	v_mul_f64 v[0:1], v[88:89], v[94:95]
	s_delay_alu instid0(VALU_DEP_1)
	v_fma_f64 v[166:167], v[84:85], v[92:93], -v[0:1]
	v_mul_f64 v[0:1], v[84:85], v[94:95]
	ds_load_2addr_b64 v[82:85], v202 offset0:106 offset1:155
	v_fma_f64 v[205:206], v[88:89], v[92:93], v[0:1]
	s_waitcnt lgkmcnt(0)
	v_mul_f64 v[0:1], v[82:83], v[104:105]
	s_delay_alu instid0(VALU_DEP_1) | instskip(SKIP_1) | instid1(VALU_DEP_1)
	v_fma_f64 v[209:210], v[78:79], v[102:103], -v[0:1]
	v_mul_f64 v[0:1], v[78:79], v[104:105]
	v_fma_f64 v[211:212], v[82:83], v[102:103], v[0:1]
	v_and_b32_e32 v0, 0xff, v2
	s_delay_alu instid0(VALU_DEP_1) | instskip(NEXT) | instid1(VALU_DEP_1)
	v_mul_lo_u16 v0, v0, 37
	v_lshrrev_b16 v0, 8, v0
	s_delay_alu instid0(VALU_DEP_1) | instskip(NEXT) | instid1(VALU_DEP_1)
	v_sub_nc_u16 v1, v2, v0
	v_lshrrev_b16 v1, 1, v1
	s_delay_alu instid0(VALU_DEP_1) | instskip(NEXT) | instid1(VALU_DEP_1)
	v_and_b32_e32 v1, 0x7f, v1
	v_add_nc_u16 v0, v1, v0
	s_delay_alu instid0(VALU_DEP_1) | instskip(NEXT) | instid1(VALU_DEP_1)
	v_lshrrev_b16 v82, 2, v0
	v_mul_lo_u16 v0, v82, 7
	s_delay_alu instid0(VALU_DEP_1) | instskip(NEXT) | instid1(VALU_DEP_1)
	v_sub_nc_u16 v0, v2, v0
	v_and_b32_e32 v83, 0xff, v0
	s_delay_alu instid0(VALU_DEP_1) | instskip(NEXT) | instid1(VALU_DEP_1)
	v_mul_u32_u24_e32 v0, 6, v83
	v_lshlrev_b32_e32 v2, 4, v0
	s_clause 0x1
	global_load_b128 v[86:89], v2, s[4:5]
	global_load_b128 v[92:95], v2, s[4:5] offset:16
	s_waitcnt vmcnt(1)
	v_mul_f64 v[0:1], v[84:85], v[88:89]
	s_delay_alu instid0(VALU_DEP_1)
	v_fma_f64 v[0:1], v[80:81], v[86:87], -v[0:1]
	scratch_store_b64 off, v[0:1], off offset:124 ; 8-byte Folded Spill
	v_mul_f64 v[0:1], v[80:81], v[88:89]
	ds_load_2addr_b64 v[78:81], v217 offset0:152 offset1:201
	v_fma_f64 v[0:1], v[84:85], v[86:87], v[0:1]
	scratch_store_b64 off, v[0:1], off offset:108 ; 8-byte Folded Spill
	s_waitcnt lgkmcnt(0)
	v_mul_f64 v[0:1], v[78:79], v[118:119]
	s_delay_alu instid0(VALU_DEP_1) | instskip(SKIP_3) | instid1(VALU_DEP_3)
	v_fma_f64 v[235:236], v[74:75], v[116:117], -v[0:1]
	v_mul_f64 v[0:1], v[74:75], v[118:119]
	v_dual_mov_b32 v118, v158 :: v_dual_mov_b32 v119, v159
	v_add_nc_u32_e32 v159, 0x3000, v255
	v_fma_f64 v[116:117], v[78:79], v[116:117], v[0:1]
	scratch_store_b64 off, v[116:117], off offset:268 ; 8-byte Folded Spill
	s_clause 0x1
	global_load_b128 v[84:87], v2, s[4:5] offset:32
	global_load_b128 v[100:103], v2, s[4:5] offset:48
	s_waitcnt vmcnt(1)
	v_mul_f64 v[0:1], v[80:81], v[86:87]
	s_delay_alu instid0(VALU_DEP_1)
	v_fma_f64 v[182:183], v[76:77], v[84:85], -v[0:1]
	v_mul_f64 v[0:1], v[76:77], v[86:87]
	ds_load_2addr_b64 v[74:77], v142 offset0:70 offset1:119
	v_fma_f64 v[184:185], v[80:81], v[84:85], v[0:1]
	s_waitcnt lgkmcnt(0)
	v_mul_f64 v[0:1], v[74:75], v[98:99]
	s_delay_alu instid0(VALU_DEP_1) | instskip(SKIP_1) | instid1(VALU_DEP_1)
	v_fma_f64 v[241:242], v[70:71], v[96:97], -v[0:1]
	v_mul_f64 v[0:1], v[70:71], v[98:99]
	v_fma_f64 v[4:5], v[74:75], v[96:97], v[0:1]
	s_clause 0x1
	scratch_store_b64 off, v[241:242], off offset:180
	scratch_store_b64 off, v[4:5], off offset:300
	s_clause 0x1
	global_load_b128 v[78:81], v2, s[4:5] offset:64
	global_load_b128 v[84:87], v2, s[4:5] offset:80
	v_add_nc_u32_e32 v2, 0xf5, v225
	scratch_store_b32 off, v2, off          ; 4-byte Folded Spill
	s_waitcnt vmcnt(1)
	v_mul_f64 v[0:1], v[76:77], v[80:81]
	s_delay_alu instid0(VALU_DEP_1)
	v_fma_f64 v[124:125], v[72:73], v[78:79], -v[0:1]
	v_mul_f64 v[0:1], v[72:73], v[80:81]
	ds_load_2addr_b64 v[70:73], v201 offset0:114 offset1:163
	v_dual_mov_b32 v202, v167 :: v_dual_mov_b32 v201, v166
	v_fma_f64 v[120:121], v[76:77], v[78:79], v[0:1]
	s_waitcnt lgkmcnt(0)
	v_mul_f64 v[0:1], v[70:71], v[94:95]
	s_delay_alu instid0(VALU_DEP_1) | instskip(SKIP_1) | instid1(VALU_DEP_1)
	v_fma_f64 v[172:173], v[66:67], v[92:93], -v[0:1]
	v_mul_f64 v[0:1], v[66:67], v[94:95]
	v_fma_f64 v[219:220], v[70:71], v[92:93], v[0:1]
	v_and_b32_e32 v0, 0xffff, v2
	scratch_store_b64 off, v[172:173], off offset:212 ; 8-byte Folded Spill
	v_mul_u32_u24_e32 v0, 0x2493, v0
	s_delay_alu instid0(VALU_DEP_1) | instskip(NEXT) | instid1(VALU_DEP_1)
	v_lshrrev_b32_e32 v0, 16, v0
	v_sub_nc_u16 v1, v2, v0
	s_delay_alu instid0(VALU_DEP_1) | instskip(NEXT) | instid1(VALU_DEP_1)
	v_lshrrev_b16 v1, 1, v1
	v_add_nc_u16 v0, v1, v0
	s_delay_alu instid0(VALU_DEP_1) | instskip(NEXT) | instid1(VALU_DEP_1)
	v_lshrrev_b16 v66, 2, v0
	v_mul_lo_u16 v0, v66, 7
	scratch_store_b64 off, v[219:220], off offset:316 ; 8-byte Folded Spill
	v_sub_nc_u16 v0, v2, v0
	s_delay_alu instid0(VALU_DEP_1) | instskip(NEXT) | instid1(VALU_DEP_1)
	v_and_b32_e32 v67, 0xffff, v0
	v_mul_u32_u24_e32 v0, 6, v67
	s_delay_alu instid0(VALU_DEP_1)
	v_lshlrev_b32_e32 v2, 4, v0
	s_clause 0x1
	global_load_b128 v[74:77], v2, s[4:5] offset:16
	global_load_b128 v[78:81], v2, s[4:5]
	s_waitcnt vmcnt(1)
	v_mul_f64 v[0:1], v[72:73], v[76:77]
	s_delay_alu instid0(VALU_DEP_1)
	v_fma_f64 v[96:97], v[68:69], v[74:75], -v[0:1]
	v_mul_f64 v[0:1], v[68:69], v[76:77]
	ds_load_2addr_b64 v[68:71], v143 offset0:32 offset1:81
	v_mov_b32_e32 v167, v97
	v_fma_f64 v[0:1], v[72:73], v[74:75], v[0:1]
	v_mov_b32_e32 v166, v96
	scratch_store_b64 off, v[0:1], off offset:100 ; 8-byte Folded Spill
	s_waitcnt lgkmcnt(0)
	v_mul_f64 v[0:1], v[68:69], v[102:103]
	s_delay_alu instid0(VALU_DEP_1) | instskip(SKIP_1) | instid1(VALU_DEP_1)
	v_fma_f64 v[237:238], v[62:63], v[100:101], -v[0:1]
	v_mul_f64 v[0:1], v[62:63], v[102:103]
	v_fma_f64 v[239:240], v[68:69], v[100:101], v[0:1]
	s_clause 0x1
	scratch_store_b64 off, v[237:238], off offset:196
	scratch_store_b64 off, v[239:240], off offset:284
	s_clause 0x1
	global_load_b128 v[72:75], v2, s[4:5] offset:48
	global_load_b128 v[92:95], v2, s[4:5] offset:32
	s_waitcnt vmcnt(1)
	v_mul_f64 v[0:1], v[70:71], v[74:75]
	s_delay_alu instid0(VALU_DEP_1)
	v_fma_f64 v[88:89], v[64:65], v[72:73], -v[0:1]
	v_mul_f64 v[0:1], v[64:65], v[74:75]
	ds_load_2addr_b64 v[62:65], v190 offset0:206 offset1:255
	v_fma_f64 v[191:192], v[70:71], v[72:73], v[0:1]
	s_waitcnt lgkmcnt(0)
	v_mul_f64 v[0:1], v[62:63], v[86:87]
	s_delay_alu instid0(VALU_DEP_1)
	v_fma_f64 v[245:246], v[58:59], v[84:85], -v[0:1]
	v_mul_f64 v[0:1], v[58:59], v[86:87]
	scratch_store_b64 off, v[245:246], off offset:220 ; 8-byte Folded Spill
	s_clause 0x1
	global_load_b128 v[68:71], v2, s[4:5] offset:80
	global_load_b128 v[72:75], v2, s[4:5] offset:64
	v_fma_f64 v[251:252], v[62:63], v[84:85], v[0:1]
	s_waitcnt vmcnt(1)
	v_mul_f64 v[0:1], v[64:65], v[70:71]
	s_delay_alu instid0(VALU_DEP_1)
	v_fma_f64 v[142:143], v[60:61], v[68:69], -v[0:1]
	v_mul_f64 v[0:1], v[60:61], v[70:71]
	ds_load_2addr_b64 v[58:61], v26 offset0:76 offset1:125
	v_fma_f64 v[215:216], v[64:65], v[68:69], v[0:1]
	s_waitcnt lgkmcnt(0)
	v_mul_f64 v[0:1], v[58:59], v[80:81]
	s_delay_alu instid0(VALU_DEP_1)
	v_fma_f64 v[217:218], v[54:55], v[78:79], -v[0:1]
	v_mul_f64 v[0:1], v[54:55], v[80:81]
	scratch_store_b64 off, v[142:143], off offset:204 ; 8-byte Folded Spill
	v_dual_mov_b32 v80, v189 :: v_dual_mov_b32 v81, v24
	scratch_store_b64 off, v[217:218], off offset:188 ; 8-byte Folded Spill
	v_fma_f64 v[223:224], v[58:59], v[78:79], v[0:1]
	v_and_b32_e32 v0, 0xffff, v193
	s_delay_alu instid0(VALU_DEP_1) | instskip(NEXT) | instid1(VALU_DEP_1)
	v_mul_u32_u24_e32 v0, 0x2493, v0
	v_lshrrev_b32_e32 v0, 16, v0
	s_delay_alu instid0(VALU_DEP_1) | instskip(NEXT) | instid1(VALU_DEP_1)
	v_sub_nc_u16 v1, v193, v0
	v_lshrrev_b16 v1, 1, v1
	s_delay_alu instid0(VALU_DEP_1) | instskip(NEXT) | instid1(VALU_DEP_1)
	v_add_nc_u16 v0, v1, v0
	v_lshrrev_b16 v54, 2, v0
	s_delay_alu instid0(VALU_DEP_1) | instskip(NEXT) | instid1(VALU_DEP_1)
	v_mul_lo_u16 v0, v54, 7
	v_sub_nc_u16 v0, v193, v0
	s_delay_alu instid0(VALU_DEP_1) | instskip(NEXT) | instid1(VALU_DEP_1)
	v_and_b32_e32 v55, 0xffff, v0
	v_mul_u32_u24_e32 v0, 6, v55
	s_delay_alu instid0(VALU_DEP_1)
	v_lshlrev_b32_e32 v2, 4, v0
	s_clause 0x1
	global_load_b128 v[62:65], v2, s[4:5]
	global_load_b128 v[68:71], v2, s[4:5] offset:16
	s_waitcnt vmcnt(1)
	v_mul_f64 v[0:1], v[60:61], v[64:65]
	s_delay_alu instid0(VALU_DEP_1)
	v_fma_f64 v[86:87], v[56:57], v[62:63], -v[0:1]
	v_mul_f64 v[0:1], v[56:57], v[64:65]
	ds_load_2addr_b64 v[56:59], v189 offset0:84 offset1:133
	v_fma_f64 v[0:1], v[60:61], v[62:63], v[0:1]
	scratch_store_b64 off, v[0:1], off offset:84 ; 8-byte Folded Spill
	s_waitcnt lgkmcnt(0)
	v_mul_f64 v[0:1], v[58:59], v[150:151]
	s_delay_alu instid0(VALU_DEP_1) | instskip(SKIP_2) | instid1(VALU_DEP_2)
	v_fma_f64 v[10:11], v[48:49], v[148:149], -v[0:1]
	v_mul_f64 v[0:1], v[48:49], v[150:151]
	v_dual_mov_b32 v48, v144 :: v_dual_mov_b32 v49, v145
	v_fma_f64 v[6:7], v[58:59], v[148:149], v[0:1]
	s_waitcnt vmcnt(0)
	v_mul_f64 v[0:1], v[56:57], v[70:71]
	s_delay_alu instid0(VALU_DEP_1) | instskip(SKIP_2) | instid1(VALU_DEP_2)
	v_fma_f64 v[84:85], v[46:47], v[68:69], -v[0:1]
	v_mul_f64 v[0:1], v[46:47], v[70:71]
	v_dual_mov_b32 v47, v31 :: v_dual_mov_b32 v46, v30
	v_fma_f64 v[0:1], v[56:57], v[68:69], v[0:1]
	ds_load_2addr_b64 v[56:59], v188 offset0:122 offset1:171
	scratch_store_b64 off, v[0:1], off offset:116 ; 8-byte Folded Spill
	s_clause 0x1
	global_load_b128 v[60:63], v2, s[4:5] offset:32
	global_load_b128 v[68:71], v2, s[4:5] offset:48
	s_waitcnt lgkmcnt(0)
	v_mul_f64 v[0:1], v[56:57], v[94:95]
	s_delay_alu instid0(VALU_DEP_1) | instskip(SKIP_1) | instid1(VALU_DEP_1)
	v_fma_f64 v[247:248], v[50:51], v[92:93], -v[0:1]
	v_mul_f64 v[0:1], v[50:51], v[94:95]
	v_fma_f64 v[253:254], v[56:57], v[92:93], v[0:1]
	s_waitcnt vmcnt(1)
	v_mul_f64 v[0:1], v[58:59], v[62:63]
	s_delay_alu instid0(VALU_DEP_1)
	v_fma_f64 v[92:93], v[52:53], v[60:61], -v[0:1]
	v_mul_f64 v[0:1], v[52:53], v[62:63]
	ds_load_2addr_b64 v[50:53], v14 offset0:130 offset1:179
	v_mov_b32_e32 v14, v225
	v_fma_f64 v[94:95], v[58:59], v[60:61], v[0:1]
	s_waitcnt lgkmcnt(0)
	v_mul_f64 v[0:1], v[52:53], v[229:230]
	s_delay_alu instid0(VALU_DEP_1) | instskip(SKIP_1) | instid1(VALU_DEP_1)
	v_fma_f64 v[152:153], v[40:41], v[227:228], -v[0:1]
	v_mul_f64 v[0:1], v[40:41], v[229:230]
	v_fma_f64 v[64:65], v[52:53], v[227:228], v[0:1]
	s_waitcnt vmcnt(0)
	v_mul_f64 v[0:1], v[50:51], v[70:71]
	s_delay_alu instid0(VALU_DEP_2) | instskip(NEXT) | instid1(VALU_DEP_2)
	v_add_f64 v[144:145], v[186:187], v[64:65]
	v_fma_f64 v[110:111], v[38:39], v[68:69], -v[0:1]
	v_mul_f64 v[0:1], v[38:39], v[70:71]
	ds_load_2addr_b64 v[38:41], v3 offset0:168 offset1:217
	v_fma_f64 v[70:71], v[50:51], v[68:69], v[0:1]
	s_waitcnt lgkmcnt(0)
	v_mul_f64 v[0:1], v[38:39], v[74:75]
	scratch_store_b64 off, v[110:111], off offset:132 ; 8-byte Folded Spill
	v_fma_f64 v[226:227], v[42:43], v[72:73], -v[0:1]
	scratch_store_b64 off, v[70:71], off offset:156 ; 8-byte Folded Spill
	v_mul_f64 v[0:1], v[42:43], v[74:75]
	scratch_store_b64 off, v[226:227], off offset:236 ; 8-byte Folded Spill
	s_clause 0x1
	global_load_b128 v[50:53], v2, s[4:5] offset:64
	global_load_b128 v[56:59], v2, s[4:5] offset:80
	v_fma_f64 v[228:229], v[38:39], v[72:73], v[0:1]
	ds_load_2addr_b64 v[76:79], v24 offset0:38 offset1:87
	s_waitcnt vmcnt(1)
	v_mul_f64 v[0:1], v[40:41], v[52:53]
	s_delay_alu instid0(VALU_DEP_1) | instskip(SKIP_1) | instid1(VALU_DEP_1)
	v_fma_f64 v[72:73], v[44:45], v[50:51], -v[0:1]
	v_mul_f64 v[0:1], v[44:45], v[52:53]
	v_fma_f64 v[74:75], v[40:41], v[50:51], v[0:1]
	ds_load_b64 v[0:1], v255 offset:18816
	v_add_f64 v[40:41], v[186:187], -v[64:65]
	v_add_f64 v[186:187], v[221:222], -v[152:153]
	s_waitcnt vmcnt(0) lgkmcnt(0)
	v_mul_f64 v[2:3], v[0:1], v[58:59]
	s_delay_alu instid0(VALU_DEP_1)
	v_fma_f64 v[150:151], v[8:9], v[56:57], -v[2:3]
	v_mul_f64 v[2:3], v[8:9], v[58:59]
	s_clause 0x1
	scratch_store_b64 off, v[72:73], off offset:140
	scratch_store_b64 off, v[150:151], off offset:148
	v_fma_f64 v[188:189], v[0:1], v[56:57], v[2:3]
	v_mul_f64 v[0:1], v[78:79], v[22:23]
	s_clause 0x1
	scratch_store_b64 off, v[74:75], off offset:164
	scratch_store_b64 off, v[188:189], off offset:172
	v_fma_f64 v[8:9], v[18:19], v[20:21], -v[0:1]
	v_mul_f64 v[0:1], v[18:19], v[22:23]
	v_add_f64 v[22:23], v[221:222], v[152:153]
	v_dual_mov_b32 v18, v32 :: v_dual_mov_b32 v19, v33
	s_delay_alu instid0(VALU_DEP_3)
	v_fma_f64 v[68:69], v[78:79], v[20:21], v[0:1]
	v_add_f64 v[20:21], v[8:9], v[136:137]
	v_and_b32_e32 v0, 0xffff, v25
	v_lshlrev_b32_e32 v1, 3, v139
	ds_load_2addr_b64 v[24:27], v255 offset1:49
	ds_load_2addr_b64 v[102:105], v255 offset0:98 offset1:147
	ds_load_2addr_b64 v[98:101], v255 offset0:196 offset1:245
	s_waitcnt lgkmcnt(0)
	s_waitcnt_vscnt null, 0x0
	s_barrier
	v_mul_u32_u24_e32 v0, 0x188, v0
	buffer_gl0_inv
	v_add3_u32 v200, 0, v0, v1
	v_add_f64 v[0:1], v[10:11], v[154:155]
	v_add_f64 v[10:11], v[154:155], -v[10:11]
	v_add_f64 v[42:43], v[68:69], -v[12:13]
	v_add_f64 v[2:3], v[22:23], v[20:21]
	s_delay_alu instid0(VALU_DEP_4)
	v_add_f64 v[28:29], v[20:21], -v[0:1]
	v_add_f64 v[38:39], v[0:1], -v[22:23]
	;; [unrolled: 1-line block ×4, first 2 shown]
	v_add_f64 v[2:3], v[0:1], v[2:3]
	v_add_f64 v[0:1], v[156:157], -v[6:7]
	v_mul_f64 v[28:29], v[28:29], s[10:11]
	s_delay_alu instid0(VALU_DEP_3) | instskip(NEXT) | instid1(VALU_DEP_3)
	v_add_f64 v[34:35], v[34:35], v[2:3]
	v_add_f64 v[50:51], v[0:1], -v[40:41]
	v_add_f64 v[44:45], v[0:1], v[40:41]
	v_add_f64 v[52:53], v[42:43], -v[0:1]
	v_fma_f64 v[0:1], v[38:39], s[22:23], v[28:29]
	v_fma_f64 v[56:57], v[2:3], s[20:21], v[34:35]
	v_mul_f64 v[50:51], v[50:51], s[18:19]
	v_add_f64 v[44:45], v[44:45], v[42:43]
	v_add_f64 v[42:43], v[126:127], -v[170:171]
	s_delay_alu instid0(VALU_DEP_4) | instskip(NEXT) | instid1(VALU_DEP_4)
	v_add_f64 v[58:59], v[0:1], v[56:57]
	v_fma_f64 v[0:1], v[52:53], s[2:3], v[50:51]
	s_delay_alu instid0(VALU_DEP_1) | instskip(SKIP_2) | instid1(VALU_DEP_2)
	v_fma_f64 v[60:61], v[44:45], s[0:1], v[0:1]
	v_and_b32_e32 v0, 0xffff, v141
	v_lshlrev_b32_e32 v1, 3, v147
	v_mul_u32_u24_e32 v0, 0x188, v0
	s_delay_alu instid0(VALU_DEP_1) | instskip(SKIP_1) | instid1(VALU_DEP_1)
	v_add3_u32 v146, 0, v0, v1
	v_and_b32_e32 v0, 0xffff, v106
	v_mul_u32_u24_e32 v0, 0x188, v0
	v_add_f64 v[62:63], v[60:61], v[58:59]
	ds_store_2addr_b64 v200, v[34:35], v[62:63] offset1:7
	v_mul_f64 v[34:35], v[38:39], s[22:23]
	s_delay_alu instid0(VALU_DEP_1) | instskip(SKIP_3) | instid1(VALU_DEP_4)
	v_fma_f64 v[34:35], v[20:21], s[12:13], -v[34:35]
	v_fma_f64 v[20:21], v[20:21], s[16:17], -v[28:29]
	v_mul_f64 v[28:29], v[22:23], s[6:7]
	v_fma_f64 v[22:23], v[22:23], s[6:7], -v[50:51]
	v_add_f64 v[34:35], v[34:35], v[56:57]
	s_delay_alu instid0(VALU_DEP_4) | instskip(NEXT) | instid1(VALU_DEP_4)
	v_add_f64 v[20:21], v[20:21], v[56:57]
	v_fma_f64 v[28:29], v[52:53], s[14:15], -v[28:29]
	s_delay_alu instid0(VALU_DEP_4) | instskip(NEXT) | instid1(VALU_DEP_2)
	v_fma_f64 v[22:23], v[44:45], s[0:1], v[22:23]
	v_fma_f64 v[28:29], v[44:45], s[0:1], v[28:29]
	s_delay_alu instid0(VALU_DEP_2)
	v_add_f64 v[40:41], v[34:35], -v[22:23]
	v_add_f64 v[22:23], v[22:23], v[34:35]
	v_add_f64 v[34:35], v[198:199], v[114:115]
	v_add_f64 v[44:45], v[18:19], -v[174:175]
	v_add_f64 v[38:39], v[28:29], v[20:21]
	v_add_f64 v[20:21], v[20:21], -v[28:29]
	v_add_f64 v[28:29], v[249:250], v[164:165]
	ds_store_2addr_b64 v200, v[38:39], v[40:41] offset0:14 offset1:21
	ds_store_2addr_b64 v200, v[22:23], v[20:21] offset0:28 offset1:35
	v_add_f64 v[20:21], v[58:59], -v[60:61]
	v_add_f64 v[22:23], v[46:47], v[48:49]
	v_add_f64 v[40:41], v[176:177], -v[160:161]
	ds_store_b64 v200, v[20:21] offset:336
	v_add_f64 v[38:39], v[28:29], v[22:23]
	v_add_f64 v[20:21], v[22:23], -v[34:35]
	v_add_f64 v[52:53], v[42:43], -v[40:41]
	v_add_f64 v[50:51], v[42:43], v[40:41]
	v_add_f64 v[42:43], v[44:45], -v[42:43]
	v_add_f64 v[22:23], v[28:29], -v[22:23]
	v_add_f64 v[38:39], v[34:35], v[38:39]
	v_add_f64 v[34:35], v[34:35], -v[28:29]
	v_mul_f64 v[20:21], v[20:21], s[10:11]
	v_mul_f64 v[52:53], v[52:53], s[18:19]
	v_add_f64 v[28:29], v[40:41], -v[44:45]
	v_add_f64 v[50:51], v[50:51], v[44:45]
	v_add_f64 v[40:41], v[231:232], -v[168:169]
	v_add_f64 v[36:37], v[36:37], v[38:39]
	v_fma_f64 v[56:57], v[34:35], s[22:23], v[20:21]
	v_mul_f64 v[34:35], v[34:35], s[22:23]
	v_fma_f64 v[58:59], v[42:43], s[2:3], v[52:53]
	v_fma_f64 v[20:21], v[22:23], s[16:17], -v[20:21]
	v_fma_f64 v[38:39], v[38:39], s[20:21], v[36:37]
	s_delay_alu instid0(VALU_DEP_4)
	v_fma_f64 v[34:35], v[22:23], s[12:13], -v[34:35]
	v_mul_f64 v[22:23], v[28:29], s[6:7]
	v_fma_f64 v[58:59], v[50:51], s[0:1], v[58:59]
	v_fma_f64 v[28:29], v[28:29], s[6:7], -v[52:53]
	v_add_f64 v[56:57], v[56:57], v[38:39]
	v_add_f64 v[20:21], v[20:21], v[38:39]
	;; [unrolled: 1-line block ×3, first 2 shown]
	v_fma_f64 v[22:23], v[42:43], s[14:15], -v[22:23]
	v_add_f64 v[42:43], v[108:109], -v[243:244]
	v_fma_f64 v[28:29], v[50:51], s[0:1], v[28:29]
	v_dual_mov_b32 v244, v229 :: v_dual_lshlrev_b32 v1, 3, v107
	v_mov_b32_e32 v243, v228
	scratch_load_b64 v[106:107], off, off offset:100 ; 8-byte Folded Reload
	v_add3_u32 v147, 0, v0, v1
	v_and_b32_e32 v0, 0xffff, v90
	s_delay_alu instid0(VALU_DEP_1)
	v_mul_u32_u24_e32 v0, 0x188, v0
	v_add_f64 v[60:61], v[58:59], v[56:57]
	v_fma_f64 v[22:23], v[50:51], s[0:1], v[22:23]
	v_add_f64 v[38:39], v[34:35], -v[28:29]
	v_add_f64 v[28:29], v[28:29], v[34:35]
	ds_store_2addr_b64 v146, v[36:37], v[60:61] offset1:7
	v_add_f64 v[36:37], v[22:23], v[20:21]
	v_add_f64 v[20:21], v[20:21], -v[22:23]
	v_add_f64 v[22:23], v[203:204], v[194:195]
	ds_store_2addr_b64 v146, v[36:37], v[38:39] offset0:14 offset1:21
	ds_store_2addr_b64 v146, v[28:29], v[20:21] offset0:28 offset1:35
	v_add_f64 v[20:21], v[56:57], -v[58:59]
	v_add_f64 v[28:29], v[130:131], v[233:234]
	v_add_f64 v[38:39], v[207:208], -v[196:197]
	ds_store_b64 v146, v[20:21] offset:336
	v_add_f64 v[20:21], v[118:119], v[132:133]
	v_add_f64 v[50:51], v[40:41], -v[38:39]
	v_add_f64 v[44:45], v[40:41], v[38:39]
	v_add_f64 v[40:41], v[42:43], -v[40:41]
	s_delay_alu instid0(VALU_DEP_4)
	v_add_f64 v[34:35], v[22:23], v[20:21]
	v_add_f64 v[36:37], v[20:21], -v[28:29]
	v_mul_f64 v[50:51], v[50:51], s[18:19]
	v_add_f64 v[44:45], v[44:45], v[42:43]
	v_add_f64 v[20:21], v[22:23], -v[20:21]
	v_add_f64 v[34:35], v[28:29], v[34:35]
	v_add_f64 v[28:29], v[28:29], -v[22:23]
	v_mul_f64 v[36:37], v[36:37], s[10:11]
	v_fma_f64 v[56:57], v[40:41], s[2:3], v[50:51]
	v_add_f64 v[22:23], v[38:39], -v[42:43]
	v_add_f64 v[30:31], v[178:179], v[34:35]
	v_mov_b32_e32 v179, v163
	v_fma_f64 v[52:53], v[28:29], s[22:23], v[36:37]
	v_fma_f64 v[56:57], v[44:45], s[0:1], v[56:57]
	v_mul_f64 v[28:29], v[28:29], s[22:23]
	v_mov_b32_e32 v178, v162
	v_add_nc_u32_e32 v162, 0x3800, v255
	s_delay_alu instid0(VALU_DEP_2) | instskip(SKIP_4) | instid1(VALU_DEP_3)
	v_add_f64 v[38:39], v[178:179], -v[116:117]
	scratch_load_b64 v[116:117], off, off offset:124 ; 8-byte Folded Reload
	v_fma_f64 v[34:35], v[34:35], s[20:21], v[30:31]
	v_fma_f64 v[28:29], v[20:21], s[12:13], -v[28:29]
	v_fma_f64 v[20:21], v[20:21], s[16:17], -v[36:37]
	v_add_f64 v[52:53], v[52:53], v[34:35]
	s_delay_alu instid0(VALU_DEP_3) | instskip(NEXT) | instid1(VALU_DEP_3)
	v_add_f64 v[28:29], v[28:29], v[34:35]
	v_add_f64 v[20:21], v[20:21], v[34:35]
	s_delay_alu instid0(VALU_DEP_3) | instskip(SKIP_3) | instid1(VALU_DEP_2)
	v_add_f64 v[58:59], v[56:57], v[52:53]
	ds_store_2addr_b64 v147, v[30:31], v[58:59] offset1:7
	v_mul_f64 v[30:31], v[22:23], s[6:7]
	v_fma_f64 v[22:23], v[22:23], s[6:7], -v[50:51]
	v_fma_f64 v[30:31], v[40:41], s[14:15], -v[30:31]
	s_delay_alu instid0(VALU_DEP_2) | instskip(SKIP_1) | instid1(VALU_DEP_3)
	v_fma_f64 v[22:23], v[44:45], s[0:1], v[22:23]
	v_add_f64 v[40:41], v[211:212], -v[205:206]
	v_fma_f64 v[30:31], v[44:45], s[0:1], v[30:31]
	s_delay_alu instid0(VALU_DEP_3) | instskip(SKIP_4) | instid1(VALU_DEP_2)
	v_add_f64 v[36:37], v[28:29], -v[22:23]
	v_add_f64 v[22:23], v[22:23], v[28:29]
	v_add_f64 v[28:29], v[122:123], v[241:242]
	v_dual_mov_b32 v242, v224 :: v_dual_lshlrev_b32 v1, 3, v91
	v_mov_b32_e32 v241, v223
	v_add3_u32 v148, 0, v0, v1
	v_and_b32_e32 v0, 0xffff, v82
	v_lshlrev_b32_e32 v1, 3, v83
	s_delay_alu instid0(VALU_DEP_2) | instskip(NEXT) | instid1(VALU_DEP_1)
	v_mul_u32_u24_e32 v0, 0x188, v0
	v_add3_u32 v149, 0, v0, v1
	scratch_load_b128 v[0:3], off, off offset:20 ; 16-byte Folded Reload
	v_add_f64 v[34:35], v[30:31], v[20:21]
	v_add_f64 v[20:21], v[20:21], -v[30:31]
	v_add_f64 v[30:31], v[235:236], v[213:214]
	ds_store_2addr_b64 v147, v[34:35], v[36:37] offset0:14 offset1:21
	ds_store_2addr_b64 v147, v[22:23], v[20:21] offset0:28 offset1:35
	v_add_f64 v[20:21], v[52:53], -v[56:57]
	v_add_f64 v[22:23], v[209:210], v[201:202]
	v_add_f64 v[36:37], v[128:129], -v[4:5]
	v_add_f64 v[4:5], v[6:7], v[156:157]
	ds_store_b64 v147, v[20:21] offset:336
	v_add_f64 v[34:35], v[28:29], v[22:23]
	v_add_f64 v[20:21], v[22:23], -v[30:31]
	v_add_f64 v[44:45], v[38:39], -v[36:37]
	v_add_f64 v[42:43], v[38:39], v[36:37]
	v_add_f64 v[38:39], v[40:41], -v[38:39]
	v_add_f64 v[22:23], v[28:29], -v[22:23]
	;; [unrolled: 1-line block ×3, first 2 shown]
	v_add_f64 v[34:35], v[30:31], v[34:35]
	v_add_f64 v[30:31], v[30:31], -v[28:29]
	v_mul_f64 v[20:21], v[20:21], s[10:11]
	v_mul_f64 v[44:45], v[44:45], s[18:19]
	v_add_f64 v[28:29], v[36:37], -v[40:41]
	v_add_f64 v[42:43], v[42:43], v[40:41]
	v_add_f64 v[36:37], v[239:240], -v[184:185]
	v_dual_mov_b32 v240, v93 :: v_dual_mov_b32 v239, v92
	v_add_f64 v[32:33], v[180:181], v[34:35]
	v_mov_b32_e32 v181, v89
	v_fma_f64 v[50:51], v[30:31], s[22:23], v[20:21]
	v_mul_f64 v[30:31], v[30:31], s[22:23]
	v_fma_f64 v[52:53], v[38:39], s[2:3], v[44:45]
	v_fma_f64 v[20:21], v[22:23], s[16:17], -v[20:21]
	v_mov_b32_e32 v180, v88
	v_fma_f64 v[34:35], v[34:35], s[20:21], v[32:33]
	v_fma_f64 v[30:31], v[22:23], s[12:13], -v[30:31]
	v_mul_f64 v[22:23], v[28:29], s[6:7]
	v_fma_f64 v[52:53], v[42:43], s[0:1], v[52:53]
	v_fma_f64 v[28:29], v[28:29], s[6:7], -v[44:45]
	v_add_f64 v[50:51], v[50:51], v[34:35]
	v_add_f64 v[20:21], v[20:21], v[34:35]
	;; [unrolled: 1-line block ×3, first 2 shown]
	v_fma_f64 v[22:23], v[38:39], s[14:15], -v[22:23]
	v_fma_f64 v[28:29], v[42:43], s[0:1], v[28:29]
	v_add_f64 v[56:57], v[52:53], v[50:51]
	s_delay_alu instid0(VALU_DEP_3) | instskip(NEXT) | instid1(VALU_DEP_3)
	v_fma_f64 v[22:23], v[42:43], s[0:1], v[22:23]
	v_add_f64 v[34:35], v[30:31], -v[28:29]
	v_add_f64 v[28:29], v[28:29], v[30:31]
	ds_store_2addr_b64 v148, v[32:33], v[56:57] offset1:7
	v_add_f64 v[32:33], v[22:23], v[20:21]
	v_add_f64 v[20:21], v[20:21], -v[22:23]
	v_add_f64 v[22:23], v[172:173], v[124:125]
	scratch_load_b64 v[172:173], off, off offset:108 ; 8-byte Folded Reload
	ds_store_2addr_b64 v148, v[32:33], v[34:35] offset0:14 offset1:21
	ds_store_2addr_b64 v148, v[28:29], v[20:21] offset0:28 offset1:35
	v_add_f64 v[20:21], v[50:51], -v[52:53]
	v_add_f64 v[28:29], v[182:183], v[237:238]
	v_add_f64 v[34:35], v[219:220], -v[120:121]
	scratch_load_b64 v[219:220], off, off offset:116 ; 8-byte Folded Reload
	v_dual_mov_b32 v238, v87 :: v_dual_mov_b32 v237, v86
	ds_store_b64 v148, v[20:21] offset:336
	s_waitcnt vmcnt(3)
	v_add_f64 v[20:21], v[116:117], v[245:246]
	v_add_f64 v[42:43], v[36:37], -v[34:35]
	v_add_f64 v[40:41], v[36:37], v[34:35]
	v_dual_mov_b32 v245, v253 :: v_dual_mov_b32 v246, v254
	s_delay_alu instid0(VALU_DEP_4) | instskip(SKIP_3) | instid1(VALU_DEP_4)
	v_add_f64 v[30:31], v[22:23], v[20:21]
	v_add_f64 v[32:33], v[20:21], -v[28:29]
	v_add_f64 v[20:21], v[22:23], -v[20:21]
	v_mul_f64 v[42:43], v[42:43], s[18:19]
	v_add_f64 v[30:31], v[28:29], v[30:31]
	v_add_f64 v[28:29], v[28:29], -v[22:23]
	v_mul_f64 v[32:33], v[32:33], s[10:11]
	s_waitcnt vmcnt(2)
	s_delay_alu instid0(VALU_DEP_3) | instskip(SKIP_1) | instid1(VALU_DEP_3)
	v_add_f64 v[44:45], v[0:1], v[30:31]
	v_and_b32_e32 v0, 0xffff, v66
	v_fma_f64 v[50:51], v[28:29], s[22:23], v[32:33]
	v_mul_f64 v[28:29], v[28:29], s[22:23]
	v_lshlrev_b32_e32 v1, 3, v67
	s_delay_alu instid0(VALU_DEP_4) | instskip(NEXT) | instid1(VALU_DEP_1)
	v_mul_u32_u24_e32 v0, 0x188, v0
	v_add3_u32 v139, 0, v0, v1
	v_and_b32_e32 v0, 0xffff, v54
	v_lshlrev_b32_e32 v1, 3, v55
	s_delay_alu instid0(VALU_DEP_2) | instskip(NEXT) | instid1(VALU_DEP_1)
	v_mul_u32_u24_e32 v0, 0x188, v0
	v_add3_u32 v141, 0, v0, v1
	v_fma_f64 v[30:31], v[30:31], s[20:21], v[44:45]
	v_fma_f64 v[28:29], v[20:21], s[12:13], -v[28:29]
	v_fma_f64 v[20:21], v[20:21], s[16:17], -v[32:33]
	s_delay_alu instid0(VALU_DEP_3) | instskip(NEXT) | instid1(VALU_DEP_3)
	v_add_f64 v[50:51], v[50:51], v[30:31]
	v_add_f64 v[28:29], v[28:29], v[30:31]
	s_delay_alu instid0(VALU_DEP_3) | instskip(SKIP_2) | instid1(VALU_DEP_1)
	v_add_f64 v[20:21], v[20:21], v[30:31]
	s_waitcnt vmcnt(1)
	v_add_f64 v[38:39], v[172:173], -v[251:252]
	v_add_f64 v[22:23], v[34:35], -v[38:39]
	;; [unrolled: 1-line block ×3, first 2 shown]
	v_add_f64 v[40:41], v[40:41], v[38:39]
	v_add_f64 v[38:39], v[191:192], -v[253:254]
	s_delay_alu instid0(VALU_DEP_4) | instskip(SKIP_2) | instid1(VALU_DEP_3)
	v_mul_f64 v[32:33], v[22:23], s[6:7]
	v_fma_f64 v[22:23], v[22:23], s[6:7], -v[42:43]
	v_fma_f64 v[52:53], v[36:37], s[2:3], v[42:43]
	v_fma_f64 v[32:33], v[36:37], s[14:15], -v[32:33]
	s_delay_alu instid0(VALU_DEP_3) | instskip(NEXT) | instid1(VALU_DEP_3)
	v_fma_f64 v[22:23], v[40:41], s[0:1], v[22:23]
	v_fma_f64 v[52:53], v[40:41], s[0:1], v[52:53]
	v_add_f64 v[36:37], v[106:107], -v[228:229]
	v_dual_mov_b32 v230, v85 :: v_dual_mov_b32 v229, v84
	v_fma_f64 v[30:31], v[40:41], s[0:1], v[32:33]
	v_add_f64 v[34:35], v[28:29], -v[22:23]
	v_add_f64 v[22:23], v[22:23], v[28:29]
	v_add_f64 v[28:29], v[166:167], v[226:227]
	v_add_f64 v[56:57], v[52:53], v[50:51]
	v_add_f64 v[40:41], v[223:224], -v[215:216]
	v_add_f64 v[42:43], v[38:39], v[36:37]
	v_dual_mov_b32 v228, v95 :: v_dual_mov_b32 v227, v94
	v_add_f64 v[32:33], v[30:31], v[20:21]
	v_add_f64 v[20:21], v[20:21], -v[30:31]
	v_add_f64 v[30:31], v[247:248], v[180:181]
	ds_store_2addr_b64 v149, v[44:45], v[56:57] offset1:7
	v_add_f64 v[44:45], v[38:39], -v[36:37]
	v_add_f64 v[38:39], v[40:41], -v[38:39]
	v_add_f64 v[42:43], v[42:43], v[40:41]
	ds_store_2addr_b64 v149, v[32:33], v[34:35] offset0:14 offset1:21
	ds_store_2addr_b64 v149, v[22:23], v[20:21] offset0:28 offset1:35
	v_add_f64 v[20:21], v[50:51], -v[52:53]
	v_add_f64 v[22:23], v[217:218], v[142:143]
	scratch_load_b64 v[217:218], off, off offset:84 ; 8-byte Folded Reload
	v_mul_f64 v[44:45], v[44:45], s[18:19]
	v_add_f64 v[142:143], v[68:69], v[12:13]
	ds_store_b64 v149, v[20:21] offset:336
	v_add_f64 v[32:33], v[28:29], v[22:23]
	v_add_f64 v[20:21], v[22:23], -v[30:31]
	v_add_f64 v[22:23], v[28:29], -v[22:23]
	v_fma_f64 v[52:53], v[38:39], s[2:3], v[44:45]
	v_add_f64 v[6:7], v[144:145], v[142:143]
	v_add_f64 v[32:33], v[30:31], v[32:33]
	v_add_f64 v[30:31], v[30:31], -v[28:29]
	v_mul_f64 v[20:21], v[20:21], s[10:11]
	v_add_f64 v[28:29], v[36:37], -v[40:41]
	v_fma_f64 v[52:53], v[42:43], s[0:1], v[52:53]
	v_add_f64 v[36:37], v[70:71], -v[227:228]
	v_add_f64 v[6:7], v[4:5], v[6:7]
	v_add_f64 v[34:35], v[2:3], v[32:33]
	v_fma_f64 v[50:51], v[30:31], s[22:23], v[20:21]
	v_mul_f64 v[30:31], v[30:31], s[22:23]
	v_fma_f64 v[20:21], v[22:23], s[16:17], -v[20:21]
	v_add_f64 v[2:3], v[24:25], v[6:7]
	v_fma_f64 v[32:33], v[32:33], s[20:21], v[34:35]
	s_delay_alu instid0(VALU_DEP_4)
	v_fma_f64 v[30:31], v[22:23], s[12:13], -v[30:31]
	v_mul_f64 v[22:23], v[28:29], s[6:7]
	v_fma_f64 v[28:29], v[28:29], s[6:7], -v[44:45]
	v_fma_f64 v[0:1], v[6:7], s[20:21], v[2:3]
	v_add_f64 v[50:51], v[50:51], v[32:33]
	v_add_f64 v[20:21], v[20:21], v[32:33]
	;; [unrolled: 1-line block ×3, first 2 shown]
	v_fma_f64 v[22:23], v[38:39], s[14:15], -v[22:23]
	v_fma_f64 v[28:29], v[42:43], s[0:1], v[28:29]
	v_add_f64 v[56:57], v[52:53], v[50:51]
	s_delay_alu instid0(VALU_DEP_3)
	v_fma_f64 v[22:23], v[42:43], s[0:1], v[22:23]
	ds_store_2addr_b64 v139, v[34:35], v[56:57] offset1:7
	v_add_f64 v[34:35], v[30:31], -v[28:29]
	v_add_f64 v[28:29], v[28:29], v[30:31]
	v_add_f64 v[30:31], v[239:240], v[110:111]
	;; [unrolled: 1-line block ×3, first 2 shown]
	v_add_f64 v[20:21], v[20:21], -v[22:23]
	v_add_f64 v[22:23], v[237:238], v[150:151]
	ds_store_2addr_b64 v139, v[32:33], v[34:35] offset0:14 offset1:21
	ds_store_2addr_b64 v139, v[28:29], v[20:21] offset0:28 offset1:35
	v_add_f64 v[28:29], v[229:230], v[72:73]
	v_add_f64 v[20:21], v[50:51], -v[52:53]
	s_waitcnt vmcnt(1)
	v_add_f64 v[34:35], v[219:220], -v[74:75]
	s_waitcnt vmcnt(0)
	v_add_f64 v[38:39], v[217:218], -v[188:189]
	v_add_f64 v[188:189], v[8:9], -v[136:137]
	;; [unrolled: 1-line block ×3, first 2 shown]
	v_add_f64 v[4:5], v[10:11], v[186:187]
	v_add_f64 v[32:33], v[28:29], v[22:23]
	ds_store_b64 v139, v[20:21] offset:336
	v_add_f64 v[20:21], v[22:23], -v[30:31]
	v_add_f64 v[42:43], v[36:37], -v[34:35]
	v_add_f64 v[40:41], v[36:37], v[34:35]
	v_add_f64 v[36:37], v[38:39], -v[36:37]
	v_mul_f64 v[225:226], v[8:9], s[10:11]
	v_add_f64 v[223:224], v[4:5], v[188:189]
	v_add_f64 v[32:33], v[30:31], v[32:33]
	v_add_f64 v[30:31], v[30:31], -v[28:29]
	v_mul_f64 v[20:21], v[20:21], s[10:11]
	v_mul_f64 v[42:43], v[42:43], s[18:19]
	v_add_f64 v[40:41], v[40:41], v[38:39]
	v_fma_f64 v[4:5], v[221:222], s[22:23], v[225:226]
	v_add_f64 v[16:17], v[16:17], v[32:33]
	v_fma_f64 v[44:45], v[30:31], s[22:23], v[20:21]
	v_fma_f64 v[50:51], v[36:37], s[2:3], v[42:43]
	s_delay_alu instid0(VALU_DEP_4) | instskip(NEXT) | instid1(VALU_DEP_4)
	v_add_f64 v[8:9], v[4:5], v[0:1]
	v_fma_f64 v[32:33], v[32:33], s[20:21], v[16:17]
	s_delay_alu instid0(VALU_DEP_3) | instskip(NEXT) | instid1(VALU_DEP_2)
	v_fma_f64 v[50:51], v[40:41], s[0:1], v[50:51]
	v_add_f64 v[44:45], v[44:45], v[32:33]
	s_delay_alu instid0(VALU_DEP_1)
	v_add_f64 v[52:53], v[50:51], v[44:45]
	v_add_f64 v[12:13], v[44:45], -v[50:51]
	ds_store_2addr_b64 v141, v[16:17], v[52:53] offset1:7
	v_add_f64 v[16:17], v[28:29], -v[22:23]
	v_add_f64 v[22:23], v[34:35], -v[38:39]
	v_mul_f64 v[28:29], v[30:31], s[22:23]
	ds_store_b64 v141, v[12:13] offset:336
	v_add_f64 v[12:13], v[10:11], -v[186:187]
	v_add_f64 v[10:11], v[188:189], -v[10:11]
	v_fma_f64 v[28:29], v[16:17], s[12:13], -v[28:29]
	v_fma_f64 v[16:17], v[16:17], s[16:17], -v[20:21]
	v_mul_f64 v[20:21], v[22:23], s[6:7]
	v_fma_f64 v[22:23], v[22:23], s[6:7], -v[42:43]
	v_mul_f64 v[253:254], v[12:13], s[18:19]
	v_dual_mov_b32 v13, v134 :: v_dual_add_nc_u32 v12, 0x1800, v255
	v_add_f64 v[28:29], v[28:29], v[32:33]
	v_add_f64 v[16:17], v[16:17], v[32:33]
	v_fma_f64 v[20:21], v[36:37], s[14:15], -v[20:21]
	v_fma_f64 v[22:23], v[40:41], s[0:1], v[22:23]
	v_fma_f64 v[4:5], v[10:11], s[2:3], v[253:254]
	s_delay_alu instid0(VALU_DEP_3) | instskip(NEXT) | instid1(VALU_DEP_3)
	v_fma_f64 v[20:21], v[40:41], s[0:1], v[20:21]
	v_add_f64 v[32:33], v[28:29], -v[22:23]
	v_add_f64 v[22:23], v[22:23], v[28:29]
	s_delay_alu instid0(VALU_DEP_4) | instskip(NEXT) | instid1(VALU_DEP_4)
	v_fma_f64 v[24:25], v[223:224], s[0:1], v[4:5]
	v_add_f64 v[30:31], v[20:21], v[16:17]
	v_add_f64 v[16:17], v[16:17], -v[20:21]
	ds_store_2addr_b64 v141, v[30:31], v[32:33] offset0:14 offset1:21
	ds_store_2addr_b64 v141, v[22:23], v[16:17] offset0:28 offset1:35
	s_waitcnt lgkmcnt(0)
	s_barrier
	buffer_gl0_inv
	ds_load_b64 v[44:45], v255 offset:18816
	ds_load_2addr_b64 v[4:7], v255 offset1:49
	s_waitcnt lgkmcnt(0)
	scratch_store_b128 off, v[4:7], off offset:52 ; 16-byte Folded Spill
	ds_load_2addr_b64 v[4:7], v81 offset0:38 offset1:87
	s_waitcnt lgkmcnt(0)
	scratch_store_b128 off, v[4:7], off offset:68 ; 16-byte Folded Spill
	v_add_nc_u32_e32 v7, 0x1000, v255
	v_add_nc_u32_e32 v4, 0x2800, v255
	;; [unrolled: 1-line block ×3, first 2 shown]
	ds_load_2addr_b64 v[94:97], v7 offset0:174 offset1:223
	ds_load_2addr_b64 v[32:35], v80 offset0:84 offset1:133
	;; [unrolled: 1-line block ×9, first 2 shown]
	v_mov_b32_e32 v15, v4
	v_mov_b32_e32 v163, v7
	s_waitcnt lgkmcnt(0)
	scratch_store_b128 off, v[36:39], off offset:36 ; 16-byte Folded Spill
	ds_load_2addr_b64 v[82:85], v12 offset0:16 offset1:65
	ds_load_2addr_b64 v[78:81], v4 offset0:190 offset1:239
	;; [unrolled: 1-line block ×7, first 2 shown]
	s_waitcnt lgkmcnt(0)
	scratch_store_b128 off, v[36:39], off offset:20 ; 16-byte Folded Spill
	ds_load_2addr_b64 v[56:59], v12 offset0:114 offset1:163
	ds_load_2addr_b64 v[52:55], v159 offset0:32 offset1:81
	;; [unrolled: 1-line block ×6, first 2 shown]
	v_add_f64 v[134:135], v[8:9], -v[24:25]
	s_waitcnt lgkmcnt(0)
	s_waitcnt_vscnt null, 0x0
	s_barrier
	buffer_gl0_inv
	scratch_load_b64 v[16:17], off, off offset:268 ; 8-byte Folded Reload
	ds_store_2addr_b64 v200, v[2:3], v[134:135] offset1:7
	v_add_f64 v[134:135], v[186:187], -v[188:189]
	v_add_f64 v[2:3], v[144:145], -v[142:143]
	v_mul_f64 v[142:143], v[221:222], s[22:23]
	s_delay_alu instid0(VALU_DEP_3) | instskip(SKIP_1) | instid1(VALU_DEP_3)
	v_mul_f64 v[144:145], v[134:135], s[6:7]
	v_fma_f64 v[134:135], v[134:135], s[6:7], -v[253:254]
	v_fma_f64 v[142:143], v[2:3], s[12:13], -v[142:143]
	;; [unrolled: 1-line block ×3, first 2 shown]
	v_mov_b32_e32 v254, v12
	v_fma_f64 v[10:11], v[10:11], s[14:15], -v[144:145]
	s_delay_alu instid0(VALU_DEP_4) | instskip(NEXT) | instid1(VALU_DEP_4)
	v_add_f64 v[142:143], v[142:143], v[0:1]
	v_add_f64 v[0:1], v[2:3], v[0:1]
	s_delay_alu instid0(VALU_DEP_3) | instskip(SKIP_1) | instid1(VALU_DEP_2)
	v_fma_f64 v[2:3], v[223:224], s[0:1], v[10:11]
	v_fma_f64 v[10:11], v[223:224], s[0:1], v[134:135]
	v_add_f64 v[134:135], v[0:1], -v[2:3]
	s_delay_alu instid0(VALU_DEP_2)
	v_add_f64 v[144:145], v[10:11], v[142:143]
	v_add_f64 v[10:11], v[142:143], -v[10:11]
	v_add_f64 v[0:1], v[2:3], v[0:1]
	v_add_f64 v[2:3], v[176:177], v[160:161]
	ds_store_2addr_b64 v200, v[134:135], v[144:145] offset0:14 offset1:21
	v_add_f64 v[134:135], v[114:115], -v[198:199]
	ds_store_2addr_b64 v200, v[10:11], v[0:1] offset0:28 offset1:35
	v_add_f64 v[0:1], v[24:25], v[8:9]
	v_add_f64 v[10:11], v[249:250], -v[164:165]
	v_add_f64 v[24:25], v[170:171], v[126:127]
	v_add_f64 v[8:9], v[46:47], -v[48:49]
	ds_store_b64 v200, v[0:1] offset:336
	v_add_f64 v[0:1], v[18:19], v[174:175]
	v_add_f64 v[188:189], v[134:135], -v[10:11]
	v_add_f64 v[186:187], v[134:135], v[10:11]
	v_add_f64 v[134:135], v[8:9], -v[134:135]
	s_delay_alu instid0(VALU_DEP_4)
	v_add_f64 v[142:143], v[2:3], v[0:1]
	v_add_f64 v[144:145], v[0:1], -v[24:25]
	v_mul_f64 v[188:189], v[188:189], s[18:19]
	v_add_f64 v[0:1], v[2:3], -v[0:1]
	v_add_f64 v[186:187], v[186:187], v[8:9]
	v_add_f64 v[142:143], v[24:25], v[142:143]
	v_add_f64 v[24:25], v[24:25], -v[2:3]
	v_mul_f64 v[144:145], v[144:145], s[10:11]
	v_add_f64 v[2:3], v[10:11], -v[8:9]
	v_fma_f64 v[221:222], v[134:135], s[2:3], v[188:189]
	v_add_f64 v[26:27], v[26:27], v[142:143]
	v_mul_f64 v[8:9], v[24:25], s[22:23]
	v_fma_f64 v[198:199], v[24:25], s[22:23], v[144:145]
	v_fma_f64 v[10:11], v[2:3], s[6:7], -v[188:189]
	v_mul_f64 v[2:3], v[2:3], s[6:7]
	v_fma_f64 v[221:222], v[186:187], s[0:1], v[221:222]
	v_fma_f64 v[142:143], v[142:143], s[20:21], v[26:27]
	v_fma_f64 v[8:9], v[0:1], s[12:13], -v[8:9]
	v_fma_f64 v[0:1], v[0:1], s[16:17], -v[144:145]
	v_fma_f64 v[10:11], v[186:187], s[0:1], v[10:11]
	v_fma_f64 v[2:3], v[134:135], s[14:15], -v[2:3]
	v_add_f64 v[198:199], v[198:199], v[142:143]
	v_add_f64 v[8:9], v[8:9], v[142:143]
	;; [unrolled: 1-line block ×3, first 2 shown]
	s_delay_alu instid0(VALU_DEP_4) | instskip(NEXT) | instid1(VALU_DEP_4)
	v_fma_f64 v[2:3], v[186:187], s[0:1], v[2:3]
	v_add_f64 v[223:224], v[198:199], -v[221:222]
	s_delay_alu instid0(VALU_DEP_4)
	v_add_f64 v[24:25], v[10:11], v[8:9]
	v_add_f64 v[8:9], v[8:9], -v[10:11]
	v_add_f64 v[10:11], v[203:204], -v[194:195]
	ds_store_2addr_b64 v146, v[26:27], v[223:224] offset1:7
	v_add_f64 v[26:27], v[0:1], -v[2:3]
	v_add_f64 v[0:1], v[2:3], v[0:1]
	v_add_f64 v[2:3], v[207:208], v[196:197]
	ds_store_2addr_b64 v146, v[26:27], v[24:25] offset0:14 offset1:21
	ds_store_2addr_b64 v146, v[8:9], v[0:1] offset0:28 offset1:35
	v_add_f64 v[0:1], v[221:222], v[198:199]
	v_add_f64 v[26:27], v[233:234], -v[130:131]
	v_add_f64 v[8:9], v[118:119], -v[132:133]
	v_add_f64 v[24:25], v[168:169], v[231:232]
	v_mov_b32_e32 v199, v15
	ds_store_b64 v146, v[0:1] offset:336
	scratch_load_b64 v[0:1], off, off offset:252 ; 8-byte Folded Reload
	v_add_f64 v[144:145], v[26:27], -v[10:11]
	v_add_f64 v[142:143], v[26:27], v[10:11]
	v_add_f64 v[26:27], v[8:9], -v[26:27]
	s_delay_alu instid0(VALU_DEP_3) | instskip(NEXT) | instid1(VALU_DEP_3)
	v_mul_f64 v[144:145], v[144:145], s[18:19]
	v_add_f64 v[142:143], v[142:143], v[8:9]
	s_delay_alu instid0(VALU_DEP_2) | instskip(NEXT) | instid1(VALU_DEP_1)
	v_fma_f64 v[164:165], v[26:27], s[2:3], v[144:145]
	v_fma_f64 v[164:165], v[142:143], s[0:1], v[164:165]
	s_waitcnt vmcnt(0)
	v_add_f64 v[0:1], v[108:109], v[0:1]
	s_delay_alu instid0(VALU_DEP_1) | instskip(SKIP_2) | instid1(VALU_DEP_3)
	v_add_f64 v[134:135], v[2:3], v[0:1]
	v_add_f64 v[136:137], v[0:1], -v[24:25]
	v_add_f64 v[0:1], v[2:3], -v[0:1]
	v_add_f64 v[134:135], v[24:25], v[134:135]
	v_add_f64 v[24:25], v[24:25], -v[2:3]
	v_add_f64 v[2:3], v[10:11], -v[8:9]
	v_mul_f64 v[136:137], v[136:137], s[10:11]
	s_delay_alu instid0(VALU_DEP_4) | instskip(NEXT) | instid1(VALU_DEP_4)
	v_add_f64 v[102:103], v[102:103], v[134:135]
	v_mul_f64 v[8:9], v[24:25], s[22:23]
	s_delay_alu instid0(VALU_DEP_4)
	v_fma_f64 v[10:11], v[2:3], s[6:7], -v[144:145]
	v_mul_f64 v[2:3], v[2:3], s[6:7]
	v_fma_f64 v[160:161], v[24:25], s[22:23], v[136:137]
	v_fma_f64 v[134:135], v[134:135], s[20:21], v[102:103]
	v_fma_f64 v[8:9], v[0:1], s[12:13], -v[8:9]
	v_fma_f64 v[0:1], v[0:1], s[16:17], -v[136:137]
	;; [unrolled: 1-line block ×3, first 2 shown]
	v_fma_f64 v[10:11], v[142:143], s[0:1], v[10:11]
	v_add_f64 v[160:161], v[160:161], v[134:135]
	v_add_f64 v[8:9], v[8:9], v[134:135]
	v_add_f64 v[0:1], v[0:1], v[134:135]
	v_fma_f64 v[2:3], v[142:143], s[0:1], v[2:3]
	s_delay_alu instid0(VALU_DEP_4) | instskip(NEXT) | instid1(VALU_DEP_4)
	v_add_f64 v[170:171], v[160:161], -v[164:165]
	v_add_f64 v[24:25], v[10:11], v[8:9]
	v_add_f64 v[8:9], v[8:9], -v[10:11]
	s_delay_alu instid0(VALU_DEP_4)
	v_add_f64 v[26:27], v[0:1], -v[2:3]
	v_add_f64 v[0:1], v[2:3], v[0:1]
	s_clause 0x1
	scratch_load_b64 v[2:3], off, off offset:300
	scratch_load_b64 v[10:11], off, off offset:180
	ds_store_2addr_b64 v147, v[102:103], v[170:171] offset1:7
	ds_store_2addr_b64 v147, v[26:27], v[24:25] offset0:14 offset1:21
	ds_store_2addr_b64 v147, v[8:9], v[0:1] offset0:28 offset1:35
	v_add_f64 v[0:1], v[164:165], v[160:161]
	v_add_f64 v[26:27], v[213:214], -v[235:236]
	v_add_f64 v[8:9], v[209:210], -v[201:202]
	v_add_f64 v[24:25], v[16:17], v[178:179]
	scratch_load_b64 v[16:17], off, off offset:284 ; 8-byte Folded Reload
	ds_store_b64 v147, v[0:1] offset:336
	v_add_f64 v[0:1], v[211:212], v[205:206]
	s_delay_alu instid0(VALU_DEP_1) | instskip(NEXT) | instid1(VALU_DEP_1)
	v_add_f64 v[118:119], v[0:1], -v[24:25]
	v_mul_f64 v[118:119], v[118:119], s[10:11]
	s_waitcnt vmcnt(2)
	v_add_f64 v[2:3], v[128:129], v[2:3]
	s_waitcnt vmcnt(1)
	v_add_f64 v[10:11], v[122:123], -v[10:11]
	s_delay_alu instid0(VALU_DEP_2) | instskip(NEXT) | instid1(VALU_DEP_2)
	v_add_f64 v[102:103], v[2:3], v[0:1]
	v_add_f64 v[130:131], v[26:27], -v[10:11]
	v_add_f64 v[122:123], v[26:27], v[10:11]
	v_add_f64 v[0:1], v[2:3], -v[0:1]
	v_add_f64 v[26:27], v[8:9], -v[26:27]
	v_add_f64 v[102:103], v[24:25], v[102:103]
	v_add_f64 v[24:25], v[24:25], -v[2:3]
	v_mul_f64 v[130:131], v[130:131], s[18:19]
	v_add_f64 v[2:3], v[10:11], -v[8:9]
	v_add_f64 v[122:123], v[122:123], v[8:9]
	v_add_f64 v[104:105], v[104:105], v[102:103]
	v_mul_f64 v[8:9], v[24:25], s[22:23]
	v_fma_f64 v[134:135], v[24:25], s[22:23], v[118:119]
	v_fma_f64 v[10:11], v[2:3], s[6:7], -v[130:131]
	v_mul_f64 v[2:3], v[2:3], s[6:7]
	v_fma_f64 v[136:137], v[26:27], s[2:3], v[130:131]
	v_fma_f64 v[102:103], v[102:103], s[20:21], v[104:105]
	v_fma_f64 v[8:9], v[0:1], s[12:13], -v[8:9]
	v_fma_f64 v[0:1], v[0:1], s[16:17], -v[118:119]
	v_fma_f64 v[10:11], v[122:123], s[0:1], v[10:11]
	v_fma_f64 v[2:3], v[26:27], s[14:15], -v[2:3]
	v_fma_f64 v[136:137], v[122:123], s[0:1], v[136:137]
	v_add_f64 v[134:135], v[134:135], v[102:103]
	v_add_f64 v[8:9], v[8:9], v[102:103]
	v_add_f64 v[0:1], v[0:1], v[102:103]
	v_fma_f64 v[2:3], v[122:123], s[0:1], v[2:3]
	s_delay_alu instid0(VALU_DEP_4) | instskip(NEXT) | instid1(VALU_DEP_4)
	v_add_f64 v[142:143], v[134:135], -v[136:137]
	v_add_f64 v[24:25], v[10:11], v[8:9]
	v_add_f64 v[8:9], v[8:9], -v[10:11]
	scratch_load_b64 v[10:11], off, off offset:212 ; 8-byte Folded Reload
	v_add_f64 v[26:27], v[0:1], -v[2:3]
	v_add_f64 v[0:1], v[2:3], v[0:1]
	scratch_load_b64 v[2:3], off, off offset:316 ; 8-byte Folded Reload
	ds_store_2addr_b64 v148, v[104:105], v[142:143] offset1:7
	ds_store_2addr_b64 v148, v[26:27], v[24:25] offset0:14 offset1:21
	ds_store_2addr_b64 v148, v[8:9], v[0:1] offset0:28 offset1:35
	scratch_load_b64 v[8:9], off, off offset:220 ; 8-byte Folded Reload
	v_add_f64 v[0:1], v[136:137], v[134:135]
	s_waitcnt vmcnt(3)
	v_add_f64 v[24:25], v[184:185], v[16:17]
	scratch_load_b64 v[16:17], off, off offset:196 ; 8-byte Folded Reload
	ds_store_b64 v148, v[0:1] offset:336
	v_add_f64 v[0:1], v[172:173], v[251:252]
	s_delay_alu instid0(VALU_DEP_1) | instskip(NEXT) | instid1(VALU_DEP_1)
	v_add_f64 v[104:105], v[0:1], -v[24:25]
	v_mul_f64 v[104:105], v[104:105], s[10:11]
	s_waitcnt vmcnt(3)
	v_add_f64 v[10:11], v[10:11], -v[124:125]
	s_waitcnt vmcnt(2)
	v_add_f64 v[2:3], v[2:3], v[120:121]
	s_waitcnt vmcnt(1)
	v_add_f64 v[8:9], v[116:117], -v[8:9]
	s_delay_alu instid0(VALU_DEP_2) | instskip(SKIP_3) | instid1(VALU_DEP_3)
	v_add_f64 v[102:103], v[2:3], v[0:1]
	v_add_f64 v[0:1], v[2:3], -v[0:1]
	s_waitcnt vmcnt(0)
	v_add_f64 v[26:27], v[16:17], -v[182:183]
	v_add_f64 v[102:103], v[24:25], v[102:103]
	v_add_f64 v[24:25], v[24:25], -v[2:3]
	v_add_f64 v[2:3], v[10:11], -v[8:9]
	s_delay_alu instid0(VALU_DEP_4)
	v_add_f64 v[118:119], v[26:27], -v[10:11]
	v_add_f64 v[108:109], v[26:27], v[10:11]
	v_add_f64 v[26:27], v[8:9], -v[26:27]
	v_add_f64 v[98:99], v[98:99], v[102:103]
	v_fma_f64 v[122:123], v[24:25], s[22:23], v[104:105]
	v_mul_f64 v[118:119], v[118:119], s[18:19]
	v_add_f64 v[108:109], v[108:109], v[8:9]
	v_mul_f64 v[8:9], v[24:25], s[22:23]
	v_fma_f64 v[102:103], v[102:103], s[20:21], v[98:99]
	s_delay_alu instid0(VALU_DEP_4) | instskip(SKIP_1) | instid1(VALU_DEP_4)
	v_fma_f64 v[10:11], v[2:3], s[6:7], -v[118:119]
	v_mul_f64 v[2:3], v[2:3], s[6:7]
	v_fma_f64 v[8:9], v[0:1], s[12:13], -v[8:9]
	v_fma_f64 v[0:1], v[0:1], s[16:17], -v[104:105]
	v_fma_f64 v[130:131], v[26:27], s[2:3], v[118:119]
	v_add_f64 v[122:123], v[122:123], v[102:103]
	v_fma_f64 v[10:11], v[108:109], s[0:1], v[10:11]
	v_fma_f64 v[2:3], v[26:27], s[14:15], -v[2:3]
	v_add_f64 v[8:9], v[8:9], v[102:103]
	v_add_f64 v[0:1], v[0:1], v[102:103]
	v_fma_f64 v[130:131], v[108:109], s[0:1], v[130:131]
	s_delay_alu instid0(VALU_DEP_4) | instskip(NEXT) | instid1(VALU_DEP_4)
	v_fma_f64 v[2:3], v[108:109], s[0:1], v[2:3]
	v_add_f64 v[24:25], v[10:11], v[8:9]
	v_add_f64 v[8:9], v[8:9], -v[10:11]
	s_delay_alu instid0(VALU_DEP_4) | instskip(NEXT) | instid1(VALU_DEP_4)
	v_add_f64 v[132:133], v[122:123], -v[130:131]
	v_add_f64 v[26:27], v[0:1], -v[2:3]
	v_add_f64 v[0:1], v[2:3], v[0:1]
	v_add_f64 v[2:3], v[106:107], v[243:244]
	ds_store_2addr_b64 v149, v[98:99], v[132:133] offset1:7
	ds_store_2addr_b64 v149, v[26:27], v[24:25] offset0:14 offset1:21
	ds_store_2addr_b64 v149, v[8:9], v[0:1] offset0:28 offset1:35
	v_add_f64 v[0:1], v[130:131], v[122:123]
	v_add_f64 v[26:27], v[180:181], -v[247:248]
	v_add_f64 v[24:25], v[245:246], v[191:192]
	ds_store_b64 v149, v[0:1] offset:336
	v_add_f64 v[0:1], v[241:242], v[215:216]
	s_clause 0x2
	scratch_load_b64 v[8:9], off, off offset:188
	scratch_load_b64 v[10:11], off, off offset:204
	;; [unrolled: 1-line block ×3, first 2 shown]
	v_add_f64 v[98:99], v[2:3], v[0:1]
	v_add_f64 v[102:103], v[0:1], -v[24:25]
	v_add_f64 v[0:1], v[2:3], -v[0:1]
	s_delay_alu instid0(VALU_DEP_3) | instskip(SKIP_1) | instid1(VALU_DEP_4)
	v_add_f64 v[98:99], v[24:25], v[98:99]
	v_add_f64 v[24:25], v[24:25], -v[2:3]
	v_mul_f64 v[102:103], v[102:103], s[10:11]
	s_delay_alu instid0(VALU_DEP_3) | instskip(NEXT) | instid1(VALU_DEP_2)
	v_add_f64 v[100:101], v[100:101], v[98:99]
	v_fma_f64 v[118:119], v[24:25], s[22:23], v[102:103]
	s_delay_alu instid0(VALU_DEP_2) | instskip(NEXT) | instid1(VALU_DEP_1)
	v_fma_f64 v[98:99], v[98:99], s[20:21], v[100:101]
	v_add_f64 v[118:119], v[118:119], v[98:99]
	s_waitcnt vmcnt(1)
	v_add_f64 v[8:9], v[8:9], -v[10:11]
	scratch_load_b64 v[10:11], off, off offset:236 ; 8-byte Folded Reload
	s_waitcnt vmcnt(0)
	v_add_f64 v[10:11], v[166:167], -v[10:11]
	s_delay_alu instid0(VALU_DEP_1) | instskip(SKIP_3) | instid1(VALU_DEP_4)
	v_add_f64 v[108:109], v[26:27], -v[10:11]
	v_add_f64 v[104:105], v[26:27], v[10:11]
	v_add_f64 v[2:3], v[10:11], -v[8:9]
	v_add_f64 v[26:27], v[8:9], -v[26:27]
	v_mul_f64 v[108:109], v[108:109], s[18:19]
	s_delay_alu instid0(VALU_DEP_4) | instskip(SKIP_1) | instid1(VALU_DEP_3)
	v_add_f64 v[104:105], v[104:105], v[8:9]
	v_mul_f64 v[8:9], v[24:25], s[22:23]
	v_fma_f64 v[10:11], v[2:3], s[6:7], -v[108:109]
	v_mul_f64 v[2:3], v[2:3], s[6:7]
	s_delay_alu instid0(VALU_DEP_3)
	v_fma_f64 v[8:9], v[0:1], s[12:13], -v[8:9]
	v_fma_f64 v[0:1], v[0:1], s[16:17], -v[102:103]
	v_fma_f64 v[120:121], v[26:27], s[2:3], v[108:109]
	v_fma_f64 v[10:11], v[104:105], s[0:1], v[10:11]
	v_fma_f64 v[2:3], v[26:27], s[14:15], -v[2:3]
	v_add_f64 v[8:9], v[8:9], v[98:99]
	v_add_f64 v[0:1], v[0:1], v[98:99]
	v_fma_f64 v[120:121], v[104:105], s[0:1], v[120:121]
	s_delay_alu instid0(VALU_DEP_4) | instskip(NEXT) | instid1(VALU_DEP_4)
	v_fma_f64 v[2:3], v[104:105], s[0:1], v[2:3]
	v_add_f64 v[24:25], v[10:11], v[8:9]
	v_add_f64 v[8:9], v[8:9], -v[10:11]
	scratch_load_b64 v[10:11], off, off offset:140 ; 8-byte Folded Reload
	v_add_f64 v[122:123], v[118:119], -v[120:121]
	v_add_f64 v[26:27], v[0:1], -v[2:3]
	v_add_f64 v[0:1], v[2:3], v[0:1]
	scratch_load_b64 v[2:3], off, off offset:164 ; 8-byte Folded Reload
	ds_store_2addr_b64 v139, v[100:101], v[122:123] offset1:7
	ds_store_2addr_b64 v139, v[26:27], v[24:25] offset0:14 offset1:21
	ds_store_2addr_b64 v139, v[8:9], v[0:1] offset0:28 offset1:35
	scratch_load_b64 v[8:9], off, off offset:148 ; 8-byte Folded Reload
	v_add_f64 v[0:1], v[120:121], v[118:119]
	v_add_f64 v[24:25], v[227:228], v[16:17]
	scratch_load_b64 v[16:17], off, off offset:132 ; 8-byte Folded Reload
	ds_store_b64 v139, v[0:1] offset:336
	scratch_load_b64 v[0:1], off, off offset:172 ; 8-byte Folded Reload
	s_waitcnt vmcnt(4)
	v_add_f64 v[10:11], v[229:230], -v[10:11]
	s_waitcnt vmcnt(3)
	v_add_f64 v[2:3], v[219:220], v[2:3]
	s_waitcnt vmcnt(2)
	v_add_f64 v[8:9], v[237:238], -v[8:9]
	s_waitcnt vmcnt(1)
	v_add_f64 v[26:27], v[16:17], -v[239:240]
	s_waitcnt vmcnt(0)
	v_add_f64 v[0:1], v[217:218], v[0:1]
	s_delay_alu instid0(VALU_DEP_2) | instskip(SKIP_2) | instid1(VALU_DEP_4)
	v_add_f64 v[104:105], v[26:27], -v[10:11]
	v_add_f64 v[102:103], v[26:27], v[10:11]
	v_add_f64 v[26:27], v[8:9], -v[26:27]
	v_add_f64 v[98:99], v[2:3], v[0:1]
	v_add_f64 v[100:101], v[0:1], -v[24:25]
	v_add_f64 v[0:1], v[2:3], -v[0:1]
	v_mul_f64 v[104:105], v[104:105], s[18:19]
	v_add_f64 v[102:103], v[102:103], v[8:9]
	v_add_f64 v[98:99], v[24:25], v[98:99]
	v_add_f64 v[24:25], v[24:25], -v[2:3]
	v_add_f64 v[2:3], v[10:11], -v[8:9]
	v_mul_f64 v[100:101], v[100:101], s[10:11]
	v_fma_f64 v[118:119], v[26:27], s[2:3], v[104:105]
	v_add_f64 v[76:77], v[76:77], v[98:99]
	v_mul_f64 v[8:9], v[24:25], s[22:23]
	v_fma_f64 v[10:11], v[2:3], s[6:7], -v[104:105]
	v_mul_f64 v[2:3], v[2:3], s[6:7]
	v_fma_f64 v[108:109], v[24:25], s[22:23], v[100:101]
	v_fma_f64 v[118:119], v[102:103], s[0:1], v[118:119]
	;; [unrolled: 1-line block ×3, first 2 shown]
	v_fma_f64 v[8:9], v[0:1], s[12:13], -v[8:9]
	v_fma_f64 v[0:1], v[0:1], s[16:17], -v[100:101]
	;; [unrolled: 1-line block ×3, first 2 shown]
	v_fma_f64 v[10:11], v[102:103], s[0:1], v[10:11]
	v_add_f64 v[108:109], v[108:109], v[98:99]
	v_add_f64 v[8:9], v[8:9], v[98:99]
	;; [unrolled: 1-line block ×3, first 2 shown]
	v_fma_f64 v[2:3], v[102:103], s[0:1], v[2:3]
	s_delay_alu instid0(VALU_DEP_4) | instskip(NEXT) | instid1(VALU_DEP_4)
	v_add_f64 v[120:121], v[108:109], -v[118:119]
	v_add_f64 v[24:25], v[10:11], v[8:9]
	v_add_f64 v[8:9], v[8:9], -v[10:11]
	s_delay_alu instid0(VALU_DEP_4)
	v_add_f64 v[26:27], v[0:1], -v[2:3]
	v_add_f64 v[0:1], v[2:3], v[0:1]
	ds_store_2addr_b64 v141, v[76:77], v[120:121] offset1:7
	ds_store_2addr_b64 v141, v[26:27], v[24:25] offset0:14 offset1:21
	ds_store_2addr_b64 v141, v[8:9], v[0:1] offset0:28 offset1:35
	v_add_f64 v[0:1], v[118:119], v[108:109]
	ds_store_b64 v141, v[0:1] offset:336
	v_mov_b32_e32 v0, v14
	scratch_store_b64 off, v[0:1], off offset:212 ; 8-byte Folded Spill
	v_mul_u32_u24_e32 v0, 6, v14
	s_waitcnt lgkmcnt(0)
	s_waitcnt_vscnt null, 0x0
	s_barrier
	buffer_gl0_inv
	ds_load_2addr_b64 v[102:105], v163 offset0:174 offset1:223
	v_lshlrev_b32_e32 v239, 4, v0
	s_clause 0x1
	global_load_b128 v[98:101], v239, s[4:5] offset:688
	global_load_b128 v[0:3], v239, s[4:5] offset:672
	s_waitcnt vmcnt(1) lgkmcnt(0)
	v_mul_f64 v[8:9], v[102:103], v[100:101]
	v_mul_f64 v[10:11], v[96:97], v[100:101]
	s_delay_alu instid0(VALU_DEP_2) | instskip(SKIP_1) | instid1(VALU_DEP_3)
	v_fma_f64 v[26:27], v[94:95], v[98:99], -v[8:9]
	v_mul_f64 v[8:9], v[104:105], v[100:101]
	v_fma_f64 v[205:206], v[104:105], v[98:99], v[10:11]
	s_delay_alu instid0(VALU_DEP_2)
	v_fma_f64 v[195:196], v[96:97], v[98:99], -v[8:9]
	v_mul_f64 v[8:9], v[94:95], v[100:101]
	global_load_b128 v[94:97], v239, s[4:5] offset:720
	v_fma_f64 v[108:109], v[102:103], v[98:99], v[8:9]
	global_load_b128 v[102:105], v239, s[4:5] offset:704
	ds_load_2addr_b64 v[98:101], v15 offset0:92 offset1:141
	s_waitcnt vmcnt(1) lgkmcnt(0)
	v_mul_f64 v[8:9], v[98:99], v[96:97]
	v_mul_f64 v[10:11], v[92:93], v[96:97]
	s_delay_alu instid0(VALU_DEP_2) | instskip(SKIP_1) | instid1(VALU_DEP_3)
	v_fma_f64 v[16:17], v[90:91], v[94:95], -v[8:9]
	v_mul_f64 v[8:9], v[100:101], v[96:97]
	v_fma_f64 v[160:161], v[100:101], v[94:95], v[10:11]
	s_delay_alu instid0(VALU_DEP_2)
	v_fma_f64 v[186:187], v[92:93], v[94:95], -v[8:9]
	v_mul_f64 v[8:9], v[90:91], v[96:97]
	global_load_b128 v[90:93], v239, s[4:5] offset:752
	v_fma_f64 v[18:19], v[98:99], v[94:95], v[8:9]
	global_load_b128 v[98:101], v239, s[4:5] offset:736
	ds_load_2addr_b64 v[94:97], v190 offset0:10 offset1:59
	s_clause 0x1
	scratch_store_b64 off, v[16:17], off offset:124
	scratch_store_b64 off, v[18:19], off offset:148
	s_waitcnt vmcnt(1) lgkmcnt(0)
	v_mul_f64 v[8:9], v[94:95], v[92:93]
	v_mul_f64 v[10:11], v[88:89], v[92:93]
	s_delay_alu instid0(VALU_DEP_2) | instskip(SKIP_1) | instid1(VALU_DEP_3)
	v_fma_f64 v[106:107], v[86:87], v[90:91], -v[8:9]
	v_mul_f64 v[8:9], v[96:97], v[92:93]
	v_fma_f64 v[130:131], v[96:97], v[90:91], v[10:11]
	s_clause 0x1
	scratch_store_b64 off, v[26:27], off offset:108
	scratch_store_b64 off, v[106:107], off offset:84
	v_fma_f64 v[197:198], v[88:89], v[90:91], -v[8:9]
	v_mul_f64 v[8:9], v[86:87], v[92:93]
	s_delay_alu instid0(VALU_DEP_1) | instskip(SKIP_4) | instid1(VALU_DEP_1)
	v_fma_f64 v[86:87], v[94:95], v[90:91], v[8:9]
	v_and_b32_e32 v8, 0xff, v138
	ds_load_2addr_b64 v[92:95], v12 offset0:16 offset1:65
	scratch_store_b64 off, v[108:109], off offset:164 ; 8-byte Folded Spill
	v_mul_lo_u16 v8, 0x4f, v8
	v_lshrrev_b16 v8, 8, v8
	s_delay_alu instid0(VALU_DEP_1) | instskip(NEXT) | instid1(VALU_DEP_1)
	v_sub_nc_u16 v9, v138, v8
	v_lshrrev_b16 v9, 1, v9
	s_delay_alu instid0(VALU_DEP_1) | instskip(NEXT) | instid1(VALU_DEP_1)
	v_and_b32_e32 v9, 0x7f, v9
	v_add_nc_u16 v8, v9, v8
	s_delay_alu instid0(VALU_DEP_1) | instskip(SKIP_2) | instid1(VALU_DEP_1)
	v_lshrrev_b16 v8, 5, v8
	scratch_store_b64 off, v[86:87], off offset:180 ; 8-byte Folded Spill
	v_mul_lo_u16 v8, v8, 49
	v_sub_nc_u16 v8, v138, v8
	s_delay_alu instid0(VALU_DEP_1) | instskip(NEXT) | instid1(VALU_DEP_1)
	v_and_b32_e32 v200, 0xff, v8
	v_mul_u32_u24_e32 v8, 6, v200
	s_delay_alu instid0(VALU_DEP_1)
	v_lshlrev_b32_e32 v10, 4, v8
	s_clause 0x1
	global_load_b128 v[88:91], v10, s[4:5] offset:688
	global_load_b128 v[217:220], v10, s[4:5] offset:672
	s_waitcnt vmcnt(1) lgkmcnt(0)
	v_mul_f64 v[8:9], v[92:93], v[90:91]
	s_delay_alu instid0(VALU_DEP_1) | instskip(SKIP_1) | instid1(VALU_DEP_1)
	v_fma_f64 v[148:149], v[82:83], v[88:89], -v[8:9]
	v_mul_f64 v[8:9], v[82:83], v[90:91]
	v_fma_f64 v[126:127], v[92:93], v[88:89], v[8:9]
	v_and_b32_e32 v8, 0xff, v140
	s_delay_alu instid0(VALU_DEP_1) | instskip(NEXT) | instid1(VALU_DEP_1)
	v_mul_lo_u16 v8, 0x4f, v8
	v_lshrrev_b16 v8, 8, v8
	s_delay_alu instid0(VALU_DEP_1) | instskip(NEXT) | instid1(VALU_DEP_1)
	v_sub_nc_u16 v9, v140, v8
	v_lshrrev_b16 v9, 1, v9
	s_delay_alu instid0(VALU_DEP_1) | instskip(NEXT) | instid1(VALU_DEP_1)
	v_and_b32_e32 v9, 0x7f, v9
	v_add_nc_u16 v8, v9, v8
	s_delay_alu instid0(VALU_DEP_1) | instskip(NEXT) | instid1(VALU_DEP_1)
	v_lshrrev_b16 v8, 5, v8
	v_mul_lo_u16 v8, v8, 49
	s_delay_alu instid0(VALU_DEP_1) | instskip(NEXT) | instid1(VALU_DEP_1)
	v_sub_nc_u16 v8, v140, v8
	v_and_b32_e32 v194, 0xff, v8
	s_delay_alu instid0(VALU_DEP_1) | instskip(NEXT) | instid1(VALU_DEP_1)
	v_mul_u32_u24_e32 v8, 6, v194
	v_lshlrev_b32_e32 v11, 4, v8
	s_clause 0x2
	global_load_b128 v[88:91], v11, s[4:5] offset:688
	global_load_b128 v[118:121], v11, s[4:5] offset:672
	;; [unrolled: 1-line block ×3, first 2 shown]
	s_waitcnt vmcnt(2)
	v_mul_f64 v[8:9], v[94:95], v[90:91]
	s_delay_alu instid0(VALU_DEP_1) | instskip(SKIP_1) | instid1(VALU_DEP_1)
	v_fma_f64 v[168:169], v[84:85], v[88:89], -v[8:9]
	v_mul_f64 v[8:9], v[84:85], v[90:91]
	v_fma_f64 v[227:228], v[94:95], v[88:89], v[8:9]
	global_load_b128 v[88:91], v10, s[4:5] offset:720
	ds_load_2addr_b64 v[92:95], v15 offset0:190 offset1:239
	s_waitcnt vmcnt(0) lgkmcnt(0)
	v_mul_f64 v[8:9], v[92:93], v[90:91]
	s_delay_alu instid0(VALU_DEP_1) | instskip(SKIP_1) | instid1(VALU_DEP_1)
	v_fma_f64 v[116:117], v[78:79], v[88:89], -v[8:9]
	v_mul_f64 v[8:9], v[78:79], v[90:91]
	v_fma_f64 v[128:129], v[92:93], v[88:89], v[8:9]
	s_clause 0x1
	global_load_b128 v[88:91], v11, s[4:5] offset:720
	global_load_b128 v[122:125], v11, s[4:5] offset:704
	s_waitcnt vmcnt(1)
	v_mul_f64 v[8:9], v[94:95], v[90:91]
	s_delay_alu instid0(VALU_DEP_1) | instskip(SKIP_1) | instid1(VALU_DEP_1)
	v_fma_f64 v[166:167], v[80:81], v[88:89], -v[8:9]
	v_mul_f64 v[8:9], v[80:81], v[90:91]
	v_fma_f64 v[191:192], v[94:95], v[88:89], v[8:9]
	s_clause 0x1
	global_load_b128 v[88:91], v10, s[4:5] offset:752
	global_load_b128 v[92:95], v10, s[4:5] offset:736
	ds_load_2addr_b64 v[140:143], v190 offset0:108 offset1:157
	s_waitcnt vmcnt(1) lgkmcnt(0)
	v_mul_f64 v[8:9], v[140:141], v[90:91]
	s_delay_alu instid0(VALU_DEP_1) | instskip(SKIP_1) | instid1(VALU_DEP_1)
	v_fma_f64 v[114:115], v[72:73], v[88:89], -v[8:9]
	v_mul_f64 v[8:9], v[72:73], v[90:91]
	v_fma_f64 v[72:73], v[140:141], v[88:89], v[8:9]
	s_clause 0x1
	global_load_b128 v[88:91], v11, s[4:5] offset:752
	global_load_b128 v[144:147], v11, s[4:5] offset:736
	scratch_load_b32 v10, off, off offset:4 ; 4-byte Folded Reload
	s_waitcnt vmcnt(2)
	v_mul_f64 v[8:9], v[142:143], v[90:91]
	s_delay_alu instid0(VALU_DEP_1) | instskip(SKIP_2) | instid1(VALU_DEP_2)
	v_fma_f64 v[80:81], v[74:75], v[88:89], -v[8:9]
	v_mul_f64 v[8:9], v[74:75], v[90:91]
	v_mov_b32_e32 v74, v13
	v_fma_f64 v[211:212], v[142:143], v[88:89], v[8:9]
	ds_load_2addr_b64 v[88:91], v13 offset0:106 offset1:155
	v_add_nc_u32_e32 v13, 0x2000, v255
	s_waitcnt lgkmcnt(0)
	v_mul_f64 v[8:9], v[88:89], v[120:121]
	s_delay_alu instid0(VALU_DEP_1) | instskip(SKIP_1) | instid1(VALU_DEP_1)
	v_fma_f64 v[209:210], v[68:69], v[118:119], -v[8:9]
	v_mul_f64 v[8:9], v[68:69], v[120:121]
	v_fma_f64 v[164:165], v[88:89], v[118:119], v[8:9]
	s_waitcnt vmcnt(0)
	v_and_b32_e32 v8, 0xff, v10
	s_delay_alu instid0(VALU_DEP_1) | instskip(NEXT) | instid1(VALU_DEP_1)
	v_mul_lo_u16 v8, 0x4f, v8
	v_lshrrev_b16 v8, 8, v8
	s_delay_alu instid0(VALU_DEP_1) | instskip(NEXT) | instid1(VALU_DEP_1)
	v_sub_nc_u16 v9, v10, v8
	v_lshrrev_b16 v9, 1, v9
	s_delay_alu instid0(VALU_DEP_1) | instskip(NEXT) | instid1(VALU_DEP_1)
	v_and_b32_e32 v9, 0x7f, v9
	v_add_nc_u16 v8, v9, v8
	s_delay_alu instid0(VALU_DEP_1) | instskip(NEXT) | instid1(VALU_DEP_1)
	v_lshrrev_b16 v8, 5, v8
	v_mul_lo_u16 v8, v8, 49
	s_delay_alu instid0(VALU_DEP_1) | instskip(NEXT) | instid1(VALU_DEP_1)
	v_sub_nc_u16 v8, v10, v8
	v_and_b32_e32 v68, 0xff, v8
	s_delay_alu instid0(VALU_DEP_1) | instskip(NEXT) | instid1(VALU_DEP_1)
	v_mul_u32_u24_e32 v8, 6, v68
	v_lshlrev_b32_e32 v10, 4, v8
	s_clause 0x1
	global_load_b128 v[118:121], v10, s[4:5] offset:672
	global_load_b128 v[140:143], v10, s[4:5] offset:688
	s_waitcnt vmcnt(1)
	v_mul_f64 v[8:9], v[90:91], v[120:121]
	s_delay_alu instid0(VALU_DEP_1) | instskip(SKIP_2) | instid1(VALU_DEP_1)
	v_fma_f64 v[233:234], v[70:71], v[118:119], -v[8:9]
	v_mul_f64 v[8:9], v[70:71], v[120:121]
	v_dual_mov_b32 v71, v159 :: v_dual_add_nc_u32 v70, 0x3400, v255
	v_mov_b32_e32 v76, v71
	s_delay_alu instid0(VALU_DEP_3) | instskip(SKIP_3) | instid1(VALU_DEP_1)
	v_fma_f64 v[244:245], v[90:91], v[118:119], v[8:9]
	ds_load_2addr_b64 v[88:91], v13 offset0:152 offset1:201
	s_waitcnt lgkmcnt(0)
	v_mul_f64 v[8:9], v[88:89], v[124:125]
	v_fma_f64 v[96:97], v[64:65], v[122:123], -v[8:9]
	v_mul_f64 v[8:9], v[64:65], v[124:125]
	s_delay_alu instid0(VALU_DEP_1)
	v_fma_f64 v[215:216], v[88:89], v[122:123], v[8:9]
	s_clause 0x1
	global_load_b128 v[118:121], v10, s[4:5] offset:704
	global_load_b128 v[122:125], v10, s[4:5] offset:720
	s_waitcnt vmcnt(1)
	v_mul_f64 v[8:9], v[90:91], v[120:121]
	s_delay_alu instid0(VALU_DEP_1)
	v_fma_f64 v[207:208], v[66:67], v[118:119], -v[8:9]
	v_mul_f64 v[8:9], v[66:67], v[120:121]
	ds_load_2addr_b64 v[64:67], v162 offset0:70 offset1:119
	v_fma_f64 v[180:181], v[90:91], v[118:119], v[8:9]
	s_clause 0x1
	global_load_b128 v[88:91], v10, s[4:5] offset:736
	global_load_b128 v[118:121], v10, s[4:5] offset:752
	scratch_load_b32 v10, off, off          ; 4-byte Folded Reload
	s_waitcnt lgkmcnt(0)
	v_mul_f64 v[8:9], v[64:65], v[146:147]
	v_add_nc_u32_e32 v69, 0x1c00, v255
	s_delay_alu instid0(VALU_DEP_2) | instskip(SKIP_1) | instid1(VALU_DEP_1)
	v_fma_f64 v[78:79], v[60:61], v[144:145], -v[8:9]
	v_mul_f64 v[8:9], v[60:61], v[146:147]
	v_fma_f64 v[146:147], v[64:65], v[144:145], v[8:9]
	s_waitcnt vmcnt(2)
	v_mul_f64 v[8:9], v[66:67], v[90:91]
	s_delay_alu instid0(VALU_DEP_1)
	v_fma_f64 v[229:230], v[62:63], v[88:89], -v[8:9]
	v_mul_f64 v[8:9], v[62:63], v[90:91]
	ds_load_2addr_b64 v[60:63], v12 offset0:114 offset1:163
	v_fma_f64 v[203:204], v[66:67], v[88:89], v[8:9]
	s_waitcnt lgkmcnt(0)
	v_mul_f64 v[8:9], v[60:61], v[142:143]
	s_delay_alu instid0(VALU_DEP_1) | instskip(SKIP_1) | instid1(VALU_DEP_1)
	v_fma_f64 v[144:145], v[56:57], v[140:141], -v[8:9]
	v_mul_f64 v[8:9], v[56:57], v[142:143]
	v_fma_f64 v[223:224], v[60:61], v[140:141], v[8:9]
	s_waitcnt vmcnt(0)
	v_and_b32_e32 v8, 0xffff, v10
	s_delay_alu instid0(VALU_DEP_1) | instskip(NEXT) | instid1(VALU_DEP_1)
	v_mul_u32_u24_e32 v8, 0x4e5f, v8
	v_lshrrev_b32_e32 v8, 16, v8
	s_delay_alu instid0(VALU_DEP_1) | instskip(NEXT) | instid1(VALU_DEP_1)
	v_sub_nc_u16 v9, v10, v8
	v_lshrrev_b16 v9, 1, v9
	s_delay_alu instid0(VALU_DEP_1) | instskip(NEXT) | instid1(VALU_DEP_1)
	v_add_nc_u16 v8, v9, v8
	v_lshrrev_b16 v8, 5, v8
	s_delay_alu instid0(VALU_DEP_1) | instskip(NEXT) | instid1(VALU_DEP_1)
	v_mul_lo_u16 v8, v8, 49
	v_sub_nc_u16 v8, v10, v8
	s_delay_alu instid0(VALU_DEP_1) | instskip(NEXT) | instid1(VALU_DEP_1)
	v_and_b32_e32 v56, 0xffff, v8
	v_mul_u32_u24_e32 v8, 6, v56
	s_delay_alu instid0(VALU_DEP_1)
	v_lshlrev_b32_e32 v10, 4, v8
	s_clause 0x1
	global_load_b128 v[64:67], v10, s[4:5] offset:688
	global_load_b128 v[88:91], v10, s[4:5] offset:672
	s_waitcnt vmcnt(1)
	v_mul_f64 v[8:9], v[62:63], v[66:67]
	s_delay_alu instid0(VALU_DEP_1)
	v_fma_f64 v[240:241], v[58:59], v[64:65], -v[8:9]
	v_mul_f64 v[8:9], v[58:59], v[66:67]
	ds_load_2addr_b64 v[57:60], v159 offset0:32 offset1:81
	v_mov_b32_e32 v67, v74
	v_fma_f64 v[8:9], v[62:63], v[64:65], v[8:9]
	scratch_store_b64 off, v[8:9], off offset:196 ; 8-byte Folded Spill
	s_waitcnt lgkmcnt(0)
	v_mul_f64 v[8:9], v[57:58], v[124:125]
	s_clause 0x1
	global_load_b128 v[61:64], v10, s[4:5] offset:720
	global_load_b128 v[247:250], v10, s[4:5] offset:704
	v_fma_f64 v[225:226], v[52:53], v[122:123], -v[8:9]
	v_mul_f64 v[8:9], v[52:53], v[124:125]
	s_delay_alu instid0(VALU_DEP_1) | instskip(SKIP_3) | instid1(VALU_DEP_1)
	v_fma_f64 v[170:171], v[57:58], v[122:123], v[8:9]
	v_add_nc_u32_e32 v253, 0x2400, v255
	s_waitcnt vmcnt(1)
	v_mul_f64 v[8:9], v[59:60], v[63:64]
	v_fma_f64 v[182:183], v[54:55], v[61:62], -v[8:9]
	v_mul_f64 v[8:9], v[54:55], v[63:64]
	ds_load_2addr_b64 v[52:55], v190 offset0:206 offset1:255
	v_fma_f64 v[242:243], v[59:60], v[61:62], v[8:9]
	s_clause 0x1
	global_load_b128 v[57:60], v10, s[4:5] offset:752
	global_load_b128 v[61:64], v10, s[4:5] offset:736
	s_waitcnt lgkmcnt(0)
	v_mul_f64 v[8:9], v[52:53], v[120:121]
	scratch_store_b32 off, v193, off offset:16 ; 4-byte Folded Spill
	v_fma_f64 v[122:123], v[20:21], v[118:119], -v[8:9]
	v_mul_f64 v[8:9], v[20:21], v[120:121]
	v_dual_mov_b32 v120, v166 :: v_dual_mov_b32 v121, v167
	v_dual_mov_b32 v166, v227 :: v_dual_mov_b32 v167, v228
	s_delay_alu instid0(VALU_DEP_3) | instskip(SKIP_3) | instid1(VALU_DEP_1)
	v_fma_f64 v[172:173], v[52:53], v[118:119], v[8:9]
	ds_load_2addr_b64 v[49:52], v163 offset0:76 offset1:125
	s_waitcnt vmcnt(1)
	v_mul_f64 v[8:9], v[54:55], v[59:60]
	v_fma_f64 v[213:214], v[22:23], v[57:58], -v[8:9]
	v_mul_f64 v[8:9], v[22:23], v[59:60]
	s_delay_alu instid0(VALU_DEP_1) | instskip(SKIP_2) | instid1(VALU_DEP_1)
	v_fma_f64 v[174:175], v[54:55], v[57:58], v[8:9]
	s_waitcnt lgkmcnt(0)
	v_mul_f64 v[8:9], v[49:50], v[90:91]
	v_fma_f64 v[235:236], v[28:29], v[88:89], -v[8:9]
	v_mul_f64 v[8:9], v[28:29], v[90:91]
	s_delay_alu instid0(VALU_DEP_1) | instskip(SKIP_1) | instid1(VALU_DEP_1)
	v_fma_f64 v[176:177], v[49:50], v[88:89], v[8:9]
	v_and_b32_e32 v8, 0xffff, v193
	v_mul_u32_u24_e32 v8, 0x4e5f, v8
	s_delay_alu instid0(VALU_DEP_1) | instskip(NEXT) | instid1(VALU_DEP_1)
	v_lshrrev_b32_e32 v8, 16, v8
	v_sub_nc_u16 v9, v193, v8
	s_delay_alu instid0(VALU_DEP_1) | instskip(NEXT) | instid1(VALU_DEP_1)
	v_lshrrev_b16 v9, 1, v9
	v_add_nc_u16 v8, v9, v8
	s_delay_alu instid0(VALU_DEP_1) | instskip(NEXT) | instid1(VALU_DEP_1)
	v_lshrrev_b16 v8, 5, v8
	v_mul_lo_u16 v8, v8, 49
	s_delay_alu instid0(VALU_DEP_1) | instskip(NEXT) | instid1(VALU_DEP_1)
	v_sub_nc_u16 v8, v193, v8
	v_and_b32_e32 v50, 0xffff, v8
	s_delay_alu instid0(VALU_DEP_1) | instskip(NEXT) | instid1(VALU_DEP_1)
	v_mul_u32_u24_e32 v8, 6, v50
	v_lshlrev_b32_e32 v10, 4, v8
	s_clause 0x1
	global_load_b128 v[57:60], v10, s[4:5] offset:672
	global_load_b128 v[88:91], v10, s[4:5] offset:688
	ds_load_2addr_b64 v[46:49], v13 offset0:54 offset1:103
	s_waitcnt vmcnt(1)
	v_mul_f64 v[8:9], v[51:52], v[59:60]
	s_delay_alu instid0(VALU_DEP_1) | instskip(SKIP_1) | instid1(VALU_DEP_1)
	v_fma_f64 v[237:238], v[30:31], v[57:58], -v[8:9]
	v_mul_f64 v[8:9], v[30:31], v[59:60]
	v_fma_f64 v[8:9], v[51:52], v[57:58], v[8:9]
	scratch_store_b64 off, v[8:9], off offset:188 ; 8-byte Folded Spill
	s_waitcnt lgkmcnt(0)
	v_mul_f64 v[8:9], v[48:49], v[136:137]
	s_delay_alu instid0(VALU_DEP_1) | instskip(SKIP_2) | instid1(VALU_DEP_2)
	v_fma_f64 v[84:85], v[42:43], v[134:135], -v[8:9]
	v_mul_f64 v[8:9], v[42:43], v[136:137]
	v_dual_mov_b32 v136, v205 :: v_dual_mov_b32 v137, v206
	v_fma_f64 v[42:43], v[48:49], v[134:135], v[8:9]
	v_mul_f64 v[8:9], v[46:47], v[104:105]
	s_delay_alu instid0(VALU_DEP_1) | instskip(SKIP_1) | instid1(VALU_DEP_1)
	v_fma_f64 v[57:58], v[40:41], v[102:103], -v[8:9]
	v_mul_f64 v[8:9], v[40:41], v[104:105]
	v_fma_f64 v[188:189], v[46:47], v[102:103], v[8:9]
	ds_load_2addr_b64 v[46:49], v69 offset0:84 offset1:133
	s_waitcnt lgkmcnt(0)
	v_mul_f64 v[8:9], v[48:49], v[104:105]
	s_delay_alu instid0(VALU_DEP_1) | instskip(SKIP_1) | instid1(VALU_DEP_1)
	v_fma_f64 v[11:12], v[34:35], v[102:103], -v[8:9]
	v_mul_f64 v[8:9], v[34:35], v[104:105]
	v_fma_f64 v[65:66], v[48:49], v[102:103], v[8:9]
	s_waitcnt vmcnt(0)
	v_mul_f64 v[8:9], v[46:47], v[90:91]
	s_clause 0x2
	scratch_store_b64 off, v[11:12], off offset:116
	scratch_store_b64 off, v[57:58], off offset:204
	;; [unrolled: 1-line block ×3, first 2 shown]
	v_fma_f64 v[231:232], v[32:33], v[88:89], -v[8:9]
	v_mul_f64 v[8:9], v[32:33], v[90:91]
	s_delay_alu instid0(VALU_DEP_1)
	v_fma_f64 v[184:185], v[46:47], v[88:89], v[8:9]
	v_mov_b32_e32 v88, v170
	ds_load_2addr_b64 v[32:35], v253 offset0:122 offset1:171
	v_mov_b32_e32 v89, v171
	s_waitcnt lgkmcnt(0)
	v_mul_f64 v[8:9], v[32:33], v[249:250]
	s_delay_alu instid0(VALU_DEP_1) | instskip(SKIP_1) | instid1(VALU_DEP_1)
	v_fma_f64 v[124:125], v[36:37], v[247:248], -v[8:9]
	v_mul_f64 v[8:9], v[36:37], v[249:250]
	v_fma_f64 v[118:119], v[32:33], v[247:248], v[8:9]
	v_mov_b32_e32 v249, v145
	v_mov_b32_e32 v247, v204
	v_dual_mov_b32 v248, v144 :: v_dual_mov_b32 v143, v207
	v_dual_mov_b32 v246, v203 :: v_dual_mov_b32 v55, v13
	v_lshl_add_u32 v138, v200, 3, 0
	v_mov_b32_e32 v203, v244
	v_dual_mov_b32 v144, v208 :: v_dual_mov_b32 v207, v237
	v_mov_b32_e32 v208, v238
	v_dual_mov_b32 v238, v232 :: v_dual_mov_b32 v237, v231
	s_clause 0x1
	global_load_b128 v[46:49], v10, s[4:5] offset:704
	global_load_b128 v[51:54], v10, s[4:5] offset:720
	ds_load_2addr_b64 v[20:23], v162 offset0:168 offset1:217
	v_mov_b32_e32 v250, v55
	v_mov_b32_e32 v204, v245
	s_waitcnt vmcnt(1)
	v_mul_f64 v[8:9], v[34:35], v[48:49]
	s_delay_alu instid0(VALU_DEP_1) | instskip(SKIP_1) | instid1(VALU_DEP_1)
	v_fma_f64 v[251:252], v[38:39], v[46:47], -v[8:9]
	v_mul_f64 v[8:9], v[38:39], v[48:49]
	v_fma_f64 v[178:179], v[34:35], v[46:47], v[8:9]
	ds_load_2addr_b64 v[34:37], v70 offset0:100 offset1:149
	s_waitcnt lgkmcnt(0)
	v_mul_f64 v[8:9], v[36:37], v[94:95]
	s_delay_alu instid0(VALU_DEP_1) | instskip(SKIP_3) | instid1(VALU_DEP_3)
	v_fma_f64 v[32:33], v[112:113], v[92:93], -v[8:9]
	v_mul_f64 v[8:9], v[112:113], v[94:95]
	v_mov_b32_e32 v95, v96
	v_mov_b32_e32 v96, v97
	v_fma_f64 v[30:31], v[36:37], v[92:93], v[8:9]
	v_mul_f64 v[8:9], v[34:35], v[100:101]
	s_delay_alu instid0(VALU_DEP_1) | instskip(SKIP_1) | instid1(VALU_DEP_1)
	v_fma_f64 v[221:222], v[110:111], v[98:99], -v[8:9]
	v_mul_f64 v[8:9], v[110:111], v[100:101]
	v_fma_f64 v[141:142], v[34:35], v[98:99], v[8:9]
	ds_load_2addr_b64 v[34:37], v159 offset0:130 offset1:179
	s_waitcnt lgkmcnt(0)
	v_mul_f64 v[8:9], v[36:37], v[100:101]
	s_delay_alu instid0(VALU_DEP_1) | instskip(SKIP_1) | instid1(VALU_DEP_1)
	v_fma_f64 v[13:14], v[152:153], v[98:99], -v[8:9]
	v_mul_f64 v[8:9], v[152:153], v[100:101]
	v_fma_f64 v[28:29], v[36:37], v[98:99], v[8:9]
	s_waitcnt vmcnt(0)
	v_mul_f64 v[8:9], v[34:35], v[53:54]
	scratch_store_b64 off, v[13:14], off offset:100 ; 8-byte Folded Spill
	v_add_f64 v[14:15], v[26:27], v[13:14]
	scratch_store_b64 off, v[28:29], off offset:156 ; 8-byte Folded Spill
	v_fma_f64 v[98:99], v[150:151], v[51:52], -v[8:9]
	v_mul_f64 v[8:9], v[150:151], v[53:54]
	v_add_f64 v[26:27], v[108:109], -v[28:29]
	s_delay_alu instid0(VALU_DEP_2) | instskip(SKIP_4) | instid1(VALU_DEP_1)
	v_fma_f64 v[158:159], v[34:35], v[51:52], v[8:9]
	s_clause 0x1
	global_load_b128 v[34:37], v10, s[4:5] offset:736
	global_load_b128 v[38:41], v10, s[4:5] offset:752
	v_mul_f64 v[8:9], v[20:21], v[63:64]
	v_fma_f64 v[82:83], v[4:5], v[61:62], -v[8:9]
	v_mul_f64 v[4:5], v[4:5], v[63:64]
	s_delay_alu instid0(VALU_DEP_1) | instskip(SKIP_3) | instid1(VALU_DEP_1)
	v_fma_f64 v[110:111], v[20:21], v[61:62], v[4:5]
	scratch_load_b128 v[61:64], off, off offset:68 ; 16-byte Folded Reload
	s_waitcnt vmcnt(2)
	v_mul_f64 v[4:5], v[22:23], v[36:37]
	v_fma_f64 v[139:140], v[6:7], v[34:35], -v[4:5]
	v_mul_f64 v[4:5], v[6:7], v[36:37]
	s_delay_alu instid0(VALU_DEP_1)
	v_fma_f64 v[93:94], v[22:23], v[34:35], v[4:5]
	ds_load_b64 v[4:5], v255 offset:18816
	v_add_nc_u32_e32 v90, 0x800, v255
	ds_load_2addr_b64 v[22:25], v90 offset0:136 offset1:185
	s_waitcnt vmcnt(1) lgkmcnt(1)
	v_mul_f64 v[6:7], v[4:5], v[40:41]
	s_delay_alu instid0(VALU_DEP_1) | instskip(SKIP_1) | instid1(VALU_DEP_1)
	v_fma_f64 v[91:92], v[44:45], v[38:39], -v[6:7]
	v_mul_f64 v[6:7], v[44:45], v[40:41]
	v_fma_f64 v[134:135], v[4:5], v[38:39], v[6:7]
	s_waitcnt lgkmcnt(0)
	v_mul_f64 v[4:5], v[24:25], v[219:220]
	s_delay_alu instid0(VALU_DEP_1) | instskip(SKIP_2) | instid1(VALU_DEP_2)
	v_fma_f64 v[20:21], v[156:157], v[217:218], -v[4:5]
	v_mul_f64 v[4:5], v[156:157], v[219:220]
	v_dual_mov_b32 v156, v186 :: v_dual_mov_b32 v157, v187
	v_fma_f64 v[112:113], v[24:25], v[217:218], v[4:5]
	v_mul_f64 v[4:5], v[22:23], v[2:3]
	s_delay_alu instid0(VALU_DEP_1)
	v_fma_f64 v[201:202], v[154:155], v[0:1], -v[4:5]
	v_mul_f64 v[4:5], v[154:155], v[2:3]
	v_dual_mov_b32 v155, v92 :: v_dual_mov_b32 v154, v91
	v_dual_mov_b32 v91, v98 :: v_dual_mov_b32 v92, v99
	;; [unrolled: 1-line block ×3, first 2 shown]
	ds_load_2addr_b64 v[100:103], v90 offset0:38 offset1:87
	v_mov_b32_e32 v93, v158
	v_mov_b32_e32 v245, v90
	;; [unrolled: 1-line block ×4, first 2 shown]
	v_fma_f64 v[132:133], v[22:23], v[0:1], v[4:5]
	s_waitcnt lgkmcnt(0)
	v_mul_f64 v[4:5], v[102:103], v[2:3]
	s_waitcnt vmcnt(0)
	v_mul_f64 v[2:3], v[63:64], v[2:3]
	s_delay_alu instid0(VALU_DEP_2) | instskip(NEXT) | instid1(VALU_DEP_2)
	v_fma_f64 v[4:5], v[63:64], v[0:1], -v[4:5]
	v_fma_f64 v[8:9], v[102:103], v[0:1], v[2:3]
	v_add_f64 v[0:1], v[11:12], v[16:17]
	s_delay_alu instid0(VALU_DEP_3)
	v_add_f64 v[2:3], v[4:5], v[106:107]
	s_clause 0x1
	scratch_store_b64 off, v[4:5], off offset:132
	scratch_store_b64 off, v[8:9], off offset:172
	v_add_f64 v[22:23], v[0:1], -v[14:15]
	v_add_f64 v[34:35], v[8:9], -v[86:87]
	v_dual_mov_b32 v86, v164 :: v_dual_mov_b32 v87, v165
	v_dual_mov_b32 v164, v180 :: v_dual_mov_b32 v165, v181
	;; [unrolled: 1-line block ×3, first 2 shown]
	v_add_f64 v[4:5], v[14:15], v[2:3]
	v_add_f64 v[6:7], v[2:3], -v[0:1]
	s_delay_alu instid0(VALU_DEP_2)
	v_add_f64 v[4:5], v[0:1], v[4:5]
	v_add_f64 v[0:1], v[18:19], -v[65:66]
	scratch_load_b128 v[16:19], off, off offset:52 ; 16-byte Folded Reload
	v_mul_f64 v[36:37], v[6:7], s[10:11]
	ds_load_2addr_b64 v[217:220], v255 offset1:49
	ds_load_2addr_b64 v[106:109], v255 offset0:98 offset1:147
	ds_load_2addr_b64 v[102:105], v255 offset0:196 offset1:245
	s_waitcnt vmcnt(0) lgkmcnt(0)
	s_waitcnt_vscnt null, 0x0
	s_barrier
	buffer_gl0_inv
	s_clause 0x2
	scratch_load_b128 v[51:54], off, off offset:20
	scratch_load_b64 v[170:171], off, off offset:196
	scratch_load_b64 v[118:119], off, off offset:188
	v_add_f64 v[10:11], v[0:1], -v[26:27]
	v_add_f64 v[8:9], v[0:1], v[26:27]
	v_add_f64 v[28:29], v[34:35], -v[0:1]
	v_fma_f64 v[0:1], v[22:23], s[22:23], v[36:37]
	s_delay_alu instid0(VALU_DEP_4) | instskip(NEXT) | instid1(VALU_DEP_4)
	v_mul_f64 v[38:39], v[10:11], s[18:19]
	v_add_f64 v[24:25], v[8:9], v[34:35]
	v_add_f64 v[46:47], v[16:17], v[4:5]
	v_add_f64 v[16:17], v[132:133], -v[130:131]
	s_delay_alu instid0(VALU_DEP_2) | instskip(SKIP_1) | instid1(VALU_DEP_2)
	v_fma_f64 v[12:13], v[4:5], s[20:21], v[46:47]
	v_mul_f64 v[4:5], v[22:23], s[22:23]
	v_add_f64 v[40:41], v[0:1], v[12:13]
	v_fma_f64 v[0:1], v[28:29], s[2:3], v[38:39]
	s_delay_alu instid0(VALU_DEP_1) | instskip(NEXT) | instid1(VALU_DEP_1)
	v_fma_f64 v[48:49], v[24:25], s[0:1], v[0:1]
	v_add_f64 v[0:1], v[48:49], v[40:41]
	ds_store_2addr_b64 v255, v[46:47], v[0:1] offset1:49
	v_add_f64 v[0:1], v[14:15], -v[2:3]
	v_add_f64 v[2:3], v[26:27], -v[34:35]
	;; [unrolled: 1-line block ×3, first 2 shown]
	s_delay_alu instid0(VALU_DEP_3) | instskip(NEXT) | instid1(VALU_DEP_3)
	v_fma_f64 v[4:5], v[0:1], s[12:13], -v[4:5]
	v_mul_f64 v[6:7], v[2:3], s[6:7]
	v_fma_f64 v[0:1], v[0:1], s[16:17], -v[36:37]
	v_fma_f64 v[2:3], v[2:3], s[6:7], -v[38:39]
	scratch_load_b128 v[36:39], off, off offset:36 ; 16-byte Folded Reload
	v_add_f64 v[4:5], v[4:5], v[12:13]
	v_fma_f64 v[6:7], v[28:29], s[14:15], -v[6:7]
	v_add_f64 v[0:1], v[0:1], v[12:13]
	v_fma_f64 v[2:3], v[24:25], s[0:1], v[2:3]
	v_add_f64 v[12:13], v[205:206], -v[141:142]
	v_dual_mov_b32 v205, v233 :: v_dual_mov_b32 v206, v234
	v_dual_mov_b32 v234, v230 :: v_dual_mov_b32 v233, v229
	;; [unrolled: 1-line block ×4, first 2 shown]
	v_add_f64 v[110:111], v[112:113], v[72:73]
	v_fma_f64 v[6:7], v[24:25], s[0:1], v[6:7]
	v_add_f64 v[10:11], v[4:5], -v[2:3]
	v_add_f64 v[2:3], v[2:3], v[4:5]
	v_add_f64 v[4:5], v[195:196], v[221:222]
	;; [unrolled: 1-line block ×3, first 2 shown]
	v_add_f64 v[24:25], v[14:15], -v[12:13]
	v_add_f64 v[12:13], v[12:13], -v[16:17]
	;; [unrolled: 1-line block ×3, first 2 shown]
	v_add_f64 v[8:9], v[6:7], v[0:1]
	v_add_f64 v[0:1], v[0:1], -v[6:7]
	v_add_f64 v[6:7], v[57:58], v[186:187]
	v_mov_b32_e32 v186, v254
	v_add_f64 v[16:17], v[22:23], v[16:17]
	v_mul_f64 v[22:23], v[12:13], s[6:7]
	ds_store_2addr_b64 v255, v[8:9], v[10:11] offset0:98 offset1:147
	ds_store_2addr_b64 v255, v[2:3], v[0:1] offset0:196 offset1:245
	v_add_f64 v[2:3], v[201:202], v[197:198]
	v_add_f64 v[0:1], v[40:41], -v[48:49]
	v_fma_f64 v[22:23], v[14:15], s[14:15], -v[22:23]
	s_delay_alu instid0(VALU_DEP_3)
	v_add_f64 v[8:9], v[4:5], v[2:3]
	v_add_f64 v[10:11], v[4:5], -v[2:3]
	v_add_f64 v[2:3], v[2:3], -v[6:7]
	;; [unrolled: 1-line block ×3, first 2 shown]
	v_fma_f64 v[22:23], v[16:17], s[0:1], v[22:23]
	v_add_f64 v[8:9], v[6:7], v[8:9]
	s_delay_alu instid0(VALU_DEP_4) | instskip(NEXT) | instid1(VALU_DEP_2)
	v_mul_f64 v[2:3], v[2:3], s[10:11]
	v_add_f64 v[6:7], v[18:19], v[8:9]
	ds_store_2addr_b64 v90, v[0:1], v[6:7] offset0:38 offset1:87
	v_fma_f64 v[0:1], v[8:9], s[20:21], v[6:7]
	v_mul_f64 v[6:7], v[24:25], s[18:19]
	v_fma_f64 v[8:9], v[4:5], s[22:23], v[2:3]
	v_mul_f64 v[4:5], v[4:5], s[22:23]
	v_fma_f64 v[2:3], v[10:11], s[16:17], -v[2:3]
	s_delay_alu instid0(VALU_DEP_4) | instskip(SKIP_1) | instid1(VALU_DEP_4)
	v_fma_f64 v[14:15], v[14:15], s[2:3], v[6:7]
	v_fma_f64 v[6:7], v[12:13], s[6:7], -v[6:7]
	v_fma_f64 v[4:5], v[10:11], s[12:13], -v[4:5]
	v_add_f64 v[8:9], v[8:9], v[0:1]
	v_add_f64 v[2:3], v[2:3], v[0:1]
	v_add_f64 v[10:11], v[126:127], -v[30:31]
	v_add_f64 v[12:13], v[128:129], -v[42:43]
	v_fma_f64 v[14:15], v[16:17], s[0:1], v[14:15]
	v_add_f64 v[0:1], v[4:5], v[0:1]
	v_fma_f64 v[4:5], v[16:17], s[0:1], v[6:7]
	v_add_f64 v[26:27], v[22:23], v[2:3]
	v_add_f64 v[16:17], v[12:13], v[10:11]
	;; [unrolled: 1-line block ×3, first 2 shown]
	s_delay_alu instid0(VALU_DEP_4)
	v_add_f64 v[6:7], v[0:1], -v[4:5]
	v_add_f64 v[0:1], v[4:5], v[0:1]
	v_add_f64 v[4:5], v[84:85], v[116:117]
	ds_store_2addr_b64 v90, v[24:25], v[26:27] offset0:136 offset1:185
	ds_store_2addr_b64 v74, v[6:7], v[0:1] offset0:106 offset1:155
	v_add_f64 v[0:1], v[2:3], -v[22:23]
	v_add_f64 v[2:3], v[8:9], -v[14:15]
	;; [unrolled: 1-line block ×4, first 2 shown]
	v_dual_mov_b32 v74, v146 :: v_dual_mov_b32 v75, v147
	v_lshl_add_u32 v147, v194, 3, 0
	v_dual_mov_b32 v194, v173 :: v_dual_mov_b32 v193, v172
	v_add_f64 v[112:113], v[126:127], v[30:31]
	v_mov_b32_e32 v172, v213
	s_delay_alu instid0(VALU_DEP_4)
	v_dual_mov_b32 v173, v214 :: v_dual_add_nc_u32 v146, 0x2000, v147
	ds_store_2addr_b64 v163, v[0:1], v[2:3] offset0:76 offset1:125
	v_add_f64 v[0:1], v[20:21], v[114:115]
	v_add_f64 v[2:3], v[148:149], v[32:33]
	v_add_f64 v[12:13], v[14:15], -v[12:13]
	v_mul_f64 v[22:23], v[22:23], s[18:19]
	v_add_f64 v[16:17], v[16:17], v[14:15]
	v_add_f64 v[8:9], v[0:1], -v[4:5]
	v_add_f64 v[6:7], v[2:3], v[0:1]
	v_add_f64 v[0:1], v[2:3], -v[0:1]
	s_delay_alu instid0(VALU_DEP_3) | instskip(NEXT) | instid1(VALU_DEP_3)
	v_mul_f64 v[8:9], v[8:9], s[10:11]
	v_add_f64 v[6:7], v[4:5], v[6:7]
	v_add_f64 v[4:5], v[4:5], -v[2:3]
	v_add_f64 v[2:3], v[10:11], -v[14:15]
	;; [unrolled: 1-line block ×3, first 2 shown]
	s_waitcnt vmcnt(0)
	s_delay_alu instid0(VALU_DEP_4) | instskip(NEXT) | instid1(VALU_DEP_4)
	v_add_f64 v[26:27], v[36:37], v[6:7]
	v_fma_f64 v[24:25], v[4:5], s[22:23], v[8:9]
	v_mul_f64 v[4:5], v[4:5], s[22:23]
	s_delay_alu instid0(VALU_DEP_3) | instskip(NEXT) | instid1(VALU_DEP_2)
	v_fma_f64 v[6:7], v[6:7], s[20:21], v[26:27]
	v_fma_f64 v[4:5], v[0:1], s[12:13], -v[4:5]
	v_fma_f64 v[0:1], v[0:1], s[16:17], -v[8:9]
	v_mul_f64 v[8:9], v[2:3], s[6:7]
	v_fma_f64 v[2:3], v[2:3], s[6:7], -v[22:23]
	v_add_f64 v[28:29], v[24:25], v[6:7]
	v_fma_f64 v[24:25], v[12:13], s[2:3], v[22:23]
	v_add_f64 v[4:5], v[4:5], v[6:7]
	v_add_f64 v[0:1], v[0:1], v[6:7]
	v_fma_f64 v[8:9], v[12:13], s[14:15], -v[8:9]
	v_fma_f64 v[2:3], v[16:17], s[0:1], v[2:3]
	v_add_f64 v[12:13], v[166:167], -v[74:75]
	v_fma_f64 v[34:35], v[16:17], s[0:1], v[24:25]
	v_add_nc_u32_e32 v24, 0x1800, v138
	v_add_nc_u32_e32 v25, 0x1000, v138
	v_fma_f64 v[6:7], v[16:17], s[0:1], v[8:9]
	v_add_f64 v[10:11], v[4:5], -v[2:3]
	v_add_f64 v[2:3], v[2:3], v[4:5]
	v_add_f64 v[4:5], v[95:96], v[120:121]
	v_add_f64 v[16:17], v[86:87], -v[211:212]
	v_add_f64 v[22:23], v[14:15], v[12:13]
	v_add_f64 v[36:37], v[34:35], v[28:29]
	;; [unrolled: 1-line block ×3, first 2 shown]
	v_add_f64 v[0:1], v[0:1], -v[6:7]
	s_delay_alu instid0(VALU_DEP_4)
	v_add_f64 v[22:23], v[22:23], v[16:17]
	ds_store_2addr_b64 v25, v[26:27], v[36:37] offset0:174 offset1:223
	v_add_f64 v[26:27], v[14:15], -v[12:13]
	v_add_f64 v[14:15], v[16:17], -v[14:15]
	ds_store_2addr_b64 v24, v[8:9], v[10:11] offset0:16 offset1:65
	ds_store_2addr_b64 v24, v[2:3], v[0:1] offset0:114 offset1:163
	v_add_f64 v[0:1], v[209:210], v[80:81]
	v_add_f64 v[2:3], v[168:169], v[78:79]
	v_mul_f64 v[26:27], v[26:27], s[18:19]
	s_delay_alu instid0(VALU_DEP_3) | instskip(NEXT) | instid1(VALU_DEP_3)
	v_add_f64 v[10:11], v[0:1], -v[4:5]
	v_add_f64 v[6:7], v[2:3], v[0:1]
	v_add_f64 v[0:1], v[2:3], -v[0:1]
	s_delay_alu instid0(VALU_DEP_3) | instskip(NEXT) | instid1(VALU_DEP_3)
	v_mul_f64 v[10:11], v[10:11], s[10:11]
	v_add_f64 v[6:7], v[4:5], v[6:7]
	v_add_f64 v[4:5], v[4:5], -v[2:3]
	v_add_f64 v[2:3], v[12:13], -v[16:17]
	s_delay_alu instid0(VALU_DEP_3) | instskip(NEXT) | instid1(VALU_DEP_3)
	v_add_f64 v[8:9], v[38:39], v[6:7]
	v_fma_f64 v[36:37], v[4:5], s[22:23], v[10:11]
	v_fma_f64 v[38:39], v[14:15], s[2:3], v[26:27]
	v_mul_f64 v[4:5], v[4:5], s[22:23]
	s_delay_alu instid0(VALU_DEP_4) | instskip(NEXT) | instid1(VALU_DEP_3)
	v_fma_f64 v[6:7], v[6:7], s[20:21], v[8:9]
	v_fma_f64 v[38:39], v[22:23], s[0:1], v[38:39]
	s_delay_alu instid0(VALU_DEP_3) | instskip(SKIP_1) | instid1(VALU_DEP_4)
	v_fma_f64 v[4:5], v[0:1], s[12:13], -v[4:5]
	v_fma_f64 v[0:1], v[0:1], s[16:17], -v[10:11]
	v_add_f64 v[36:37], v[36:37], v[6:7]
	s_delay_alu instid0(VALU_DEP_3) | instskip(NEXT) | instid1(VALU_DEP_3)
	v_add_f64 v[4:5], v[4:5], v[6:7]
	v_add_f64 v[0:1], v[0:1], v[6:7]
	s_delay_alu instid0(VALU_DEP_3) | instskip(SKIP_3) | instid1(VALU_DEP_2)
	v_add_f64 v[40:41], v[38:39], v[36:37]
	ds_store_2addr_b64 v146, v[8:9], v[40:41] offset0:5 offset1:54
	v_mul_f64 v[8:9], v[2:3], s[6:7]
	v_fma_f64 v[2:3], v[2:3], s[6:7], -v[26:27]
	v_fma_f64 v[8:9], v[14:15], s[14:15], -v[8:9]
	s_delay_alu instid0(VALU_DEP_2) | instskip(SKIP_1) | instid1(VALU_DEP_3)
	v_fma_f64 v[2:3], v[22:23], s[0:1], v[2:3]
	v_add_f64 v[13:14], v[88:89], -v[164:165]
	v_fma_f64 v[6:7], v[22:23], s[0:1], v[8:9]
	s_delay_alu instid0(VALU_DEP_3) | instskip(SKIP_1) | instid1(VALU_DEP_3)
	v_add_f64 v[10:11], v[4:5], -v[2:3]
	v_add_f64 v[2:3], v[2:3], v[4:5]
	v_add_f64 v[8:9], v[6:7], v[0:1]
	v_add_f64 v[0:1], v[0:1], -v[6:7]
	v_add_f64 v[5:6], v[143:144], v[225:226]
	ds_store_2addr_b64 v146, v[8:9], v[10:11] offset0:103 offset1:152
	ds_store_2addr_b64 v146, v[2:3], v[0:1] offset0:201 offset1:250
	v_add_f64 v[0:1], v[205:206], v[122:123]
	v_add_f64 v[3:4], v[248:249], v[233:234]
	v_lshl_add_u32 v2, v68, 3, 0
	v_add_f64 v[11:12], v[223:224], -v[246:247]
	s_delay_alu instid0(VALU_DEP_2)
	v_add_nc_u32_e32 v187, 0x2800, v2
	v_add_f64 v[15:16], v[203:204], -v[193:194]
	v_add_f64 v[9:10], v[0:1], -v[5:6]
	v_add_f64 v[7:8], v[3:4], v[0:1]
	v_add_f64 v[0:1], v[3:4], -v[0:1]
	v_add_f64 v[26:27], v[13:14], -v[11:12]
	v_add_f64 v[22:23], v[13:14], v[11:12]
	v_add_f64 v[13:14], v[15:16], -v[13:14]
	v_mul_f64 v[9:10], v[9:10], s[10:11]
	v_add_f64 v[7:8], v[5:6], v[7:8]
	v_add_f64 v[5:6], v[5:6], -v[3:4]
	v_add_f64 v[3:4], v[11:12], -v[15:16]
	v_mul_f64 v[26:27], v[26:27], s[18:19]
	v_add_f64 v[22:23], v[22:23], v[15:16]
	v_add_f64 v[15:16], v[170:171], -v[182:183]
	v_add_f64 v[40:41], v[51:52], v[7:8]
	v_fma_f64 v[46:47], v[5:6], s[22:23], v[9:10]
	v_mul_f64 v[5:6], v[5:6], s[22:23]
	v_fma_f64 v[48:49], v[13:14], s[2:3], v[26:27]
	s_delay_alu instid0(VALU_DEP_4) | instskip(NEXT) | instid1(VALU_DEP_3)
	v_fma_f64 v[7:8], v[7:8], s[20:21], v[40:41]
	v_fma_f64 v[5:6], v[0:1], s[12:13], -v[5:6]
	v_fma_f64 v[0:1], v[0:1], s[16:17], -v[9:10]
	v_mul_f64 v[9:10], v[3:4], s[6:7]
	v_fma_f64 v[3:4], v[3:4], s[6:7], -v[26:27]
	v_add_nc_u32_e32 v27, 0x3000, v2
	v_fma_f64 v[48:49], v[22:23], s[0:1], v[48:49]
	v_add_f64 v[46:47], v[46:47], v[7:8]
	v_add_f64 v[5:6], v[5:6], v[7:8]
	;; [unrolled: 1-line block ×3, first 2 shown]
	v_fma_f64 v[9:10], v[13:14], s[14:15], -v[9:10]
	v_fma_f64 v[3:4], v[22:23], s[0:1], v[3:4]
	v_add_f64 v[51:52], v[48:49], v[46:47]
	s_delay_alu instid0(VALU_DEP_3) | instskip(NEXT) | instid1(VALU_DEP_3)
	v_fma_f64 v[7:8], v[22:23], s[0:1], v[9:10]
	v_add_f64 v[11:12], v[5:6], -v[3:4]
	v_add_f64 v[3:4], v[3:4], v[5:6]
	v_add_f64 v[5:6], v[240:241], v[82:83]
	v_add_f64 v[22:23], v[176:177], -v[174:175]
	ds_store_2addr_b64 v187, v[40:41], v[51:52] offset0:92 offset1:141
	v_add_f64 v[9:10], v[7:8], v[0:1]
	v_add_f64 v[0:1], v[0:1], -v[7:8]
	ds_store_2addr_b64 v187, v[9:10], v[11:12] offset0:190 offset1:239
	ds_store_2addr_b64 v27, v[3:4], v[0:1] offset0:32 offset1:81
	v_add_f64 v[0:1], v[235:236], v[172:173]
	v_add_f64 v[3:4], v[124:125], v[229:230]
	s_delay_alu instid0(VALU_DEP_2) | instskip(NEXT) | instid1(VALU_DEP_2)
	v_add_f64 v[7:8], v[5:6], v[0:1]
	v_add_f64 v[11:12], v[0:1], -v[3:4]
	v_add_f64 v[13:14], v[3:4], -v[5:6]
	;; [unrolled: 1-line block ×4, first 2 shown]
	v_add_f64 v[7:8], v[3:4], v[7:8]
	v_add_f64 v[3:4], v[242:243], -v[180:181]
	v_mul_f64 v[11:12], v[11:12], s[10:11]
	s_delay_alu instid0(VALU_DEP_3) | instskip(NEXT) | instid1(VALU_DEP_3)
	v_add_f64 v[9:10], v[53:54], v[7:8]
	v_add_f64 v[51:52], v[3:4], -v[15:16]
	v_add_f64 v[40:41], v[3:4], v[15:16]
	v_add_f64 v[53:54], v[22:23], -v[3:4]
	v_fma_f64 v[3:4], v[13:14], s[22:23], v[11:12]
	v_fma_f64 v[7:8], v[7:8], s[20:21], v[9:10]
	v_mul_f64 v[51:52], v[51:52], s[18:19]
	v_add_f64 v[40:41], v[40:41], v[22:23]
	v_add_f64 v[22:23], v[184:185], -v[97:98]
	s_delay_alu instid0(VALU_DEP_4) | instskip(NEXT) | instid1(VALU_DEP_4)
	v_add_f64 v[57:58], v[3:4], v[7:8]
	v_fma_f64 v[3:4], v[53:54], s[2:3], v[51:52]
	s_delay_alu instid0(VALU_DEP_1) | instskip(SKIP_1) | instid1(VALU_DEP_1)
	v_fma_f64 v[59:60], v[40:41], s[0:1], v[3:4]
	v_lshl_add_u32 v3, v56, 3, 0
	v_add_nc_u32_e32 v4, 0x3000, v3
	v_add_nc_u32_e32 v26, 0x3800, v3
	s_delay_alu instid0(VALU_DEP_4) | instskip(SKIP_2) | instid1(VALU_DEP_1)
	v_add_f64 v[55:56], v[59:60], v[57:58]
	ds_store_2addr_b64 v4, v[9:10], v[55:56] offset0:179 offset1:228
	v_mul_f64 v[9:10], v[13:14], s[22:23]
	v_fma_f64 v[9:10], v[0:1], s[12:13], -v[9:10]
	v_fma_f64 v[0:1], v[0:1], s[16:17], -v[11:12]
	v_mul_f64 v[11:12], v[5:6], s[6:7]
	v_fma_f64 v[5:6], v[5:6], s[6:7], -v[51:52]
	s_delay_alu instid0(VALU_DEP_4) | instskip(NEXT) | instid1(VALU_DEP_4)
	v_add_f64 v[9:10], v[9:10], v[7:8]
	v_add_f64 v[0:1], v[0:1], v[7:8]
	s_delay_alu instid0(VALU_DEP_4) | instskip(NEXT) | instid1(VALU_DEP_4)
	v_fma_f64 v[11:12], v[53:54], s[14:15], -v[11:12]
	v_fma_f64 v[5:6], v[40:41], s[0:1], v[5:6]
	s_delay_alu instid0(VALU_DEP_2) | instskip(NEXT) | instid1(VALU_DEP_2)
	v_fma_f64 v[7:8], v[40:41], s[0:1], v[11:12]
	v_add_f64 v[13:14], v[9:10], -v[5:6]
	v_add_f64 v[5:6], v[5:6], v[9:10]
	v_add_f64 v[40:41], v[118:119], -v[134:135]
	s_delay_alu instid0(VALU_DEP_4)
	v_add_f64 v[11:12], v[7:8], v[0:1]
	v_add_f64 v[0:1], v[0:1], -v[7:8]
	v_add_f64 v[7:8], v[237:238], v[139:140]
	ds_store_2addr_b64 v26, v[11:12], v[13:14] offset0:21 offset1:70
	ds_store_2addr_b64 v26, v[5:6], v[0:1] offset0:119 offset1:168
	v_add_f64 v[5:6], v[207:208], v[154:155]
	v_add_f64 v[0:1], v[251:252], v[91:92]
	s_delay_alu instid0(VALU_DEP_2) | instskip(NEXT) | instid1(VALU_DEP_2)
	v_add_f64 v[9:10], v[7:8], v[5:6]
	v_add_f64 v[13:14], v[5:6], -v[0:1]
	v_add_f64 v[15:16], v[0:1], -v[7:8]
	;; [unrolled: 1-line block ×4, first 2 shown]
	v_add_f64 v[9:10], v[0:1], v[9:10]
	v_add_f64 v[0:1], v[93:94], -v[178:179]
	v_mul_f64 v[13:14], v[13:14], s[10:11]
	s_delay_alu instid0(VALU_DEP_3) | instskip(NEXT) | instid1(VALU_DEP_3)
	v_add_f64 v[11:12], v[61:62], v[9:10]
	v_add_f64 v[53:54], v[0:1], -v[22:23]
	v_add_f64 v[51:52], v[0:1], v[22:23]
	v_add_f64 v[55:56], v[40:41], -v[0:1]
	v_fma_f64 v[0:1], v[15:16], s[22:23], v[13:14]
	v_fma_f64 v[9:10], v[9:10], s[20:21], v[11:12]
	v_mul_f64 v[53:54], v[53:54], s[18:19]
	v_add_f64 v[51:52], v[51:52], v[40:41]
	s_delay_alu instid0(VALU_DEP_3) | instskip(NEXT) | instid1(VALU_DEP_3)
	v_add_f64 v[61:62], v[0:1], v[9:10]
	v_fma_f64 v[0:1], v[55:56], s[2:3], v[53:54]
	s_delay_alu instid0(VALU_DEP_1) | instskip(SKIP_1) | instid1(VALU_DEP_1)
	v_fma_f64 v[63:64], v[51:52], s[0:1], v[0:1]
	v_lshl_add_u32 v0, v50, 3, 0
	v_add_nc_u32_e32 v1, 0x4000, v0
	s_delay_alu instid0(VALU_DEP_3) | instskip(SKIP_2) | instid1(VALU_DEP_1)
	v_add_f64 v[65:66], v[63:64], v[61:62]
	ds_store_2addr_b64 v1, v[11:12], v[65:66] offset0:10 offset1:59
	v_mul_f64 v[11:12], v[15:16], s[22:23]
	v_fma_f64 v[11:12], v[5:6], s[12:13], -v[11:12]
	v_fma_f64 v[5:6], v[5:6], s[16:17], -v[13:14]
	v_mul_f64 v[13:14], v[7:8], s[6:7]
	v_fma_f64 v[7:8], v[7:8], s[6:7], -v[53:54]
	s_delay_alu instid0(VALU_DEP_4) | instskip(NEXT) | instid1(VALU_DEP_4)
	v_add_f64 v[11:12], v[11:12], v[9:10]
	v_add_f64 v[5:6], v[5:6], v[9:10]
	s_delay_alu instid0(VALU_DEP_4) | instskip(NEXT) | instid1(VALU_DEP_4)
	v_fma_f64 v[13:14], v[55:56], s[14:15], -v[13:14]
	v_fma_f64 v[7:8], v[51:52], s[0:1], v[7:8]
	s_delay_alu instid0(VALU_DEP_2) | instskip(NEXT) | instid1(VALU_DEP_2)
	v_fma_f64 v[9:10], v[51:52], s[0:1], v[13:14]
	v_add_f64 v[15:16], v[11:12], -v[7:8]
	v_add_f64 v[7:8], v[7:8], v[11:12]
	v_add_f64 v[11:12], v[57:58], -v[59:60]
	s_delay_alu instid0(VALU_DEP_4)
	v_add_f64 v[13:14], v[9:10], v[5:6]
	v_add_f64 v[5:6], v[5:6], -v[9:10]
	v_add_f64 v[9:10], v[46:47], -v[48:49]
	ds_store_2addr_b64 v1, v[13:14], v[15:16] offset0:108 offset1:157
	ds_store_2addr_b64 v1, v[7:8], v[5:6] offset0:206 offset1:255
	v_add_f64 v[5:6], v[28:29], -v[34:35]
	v_add_f64 v[7:8], v[36:37], -v[38:39]
	;; [unrolled: 1-line block ×3, first 2 shown]
	ds_store_b64 v138, v[5:6] offset:7840
	ds_store_b64 v147, v[7:8] offset:10584
	;; [unrolled: 1-line block ×5, first 2 shown]
	v_add_f64 v[5:6], v[20:21], -v[114:115]
	v_add_f64 v[114:115], v[148:149], -v[32:33]
	v_add_f64 v[7:8], v[42:43], v[128:129]
	v_add_f64 v[9:10], v[116:117], -v[84:85]
	v_add_f64 v[11:12], v[112:113], v[110:111]
	s_waitcnt lgkmcnt(0)
	s_barrier
	buffer_gl0_inv
	v_add_f64 v[13:14], v[110:111], -v[7:8]
	v_add_f64 v[15:16], v[9:10], -v[114:115]
	v_add_f64 v[11:12], v[7:8], v[11:12]
	v_add_f64 v[116:117], v[7:8], -v[112:113]
	v_add_f64 v[7:8], v[9:10], v[114:115]
	v_add_f64 v[126:127], v[5:6], -v[9:10]
	v_mul_f64 v[20:21], v[13:14], s[10:11]
	v_mul_f64 v[22:23], v[15:16], s[18:19]
	v_add_f64 v[106:107], v[106:107], v[11:12]
	v_add_f64 v[128:129], v[7:8], v[5:6]
	v_add_f64 v[5:6], v[114:115], -v[5:6]
	v_fma_f64 v[9:10], v[116:117], s[22:23], v[20:21]
	s_delay_alu instid0(VALU_DEP_4) | instskip(SKIP_1) | instid1(VALU_DEP_4)
	v_fma_f64 v[7:8], v[11:12], s[20:21], v[106:107]
	v_fma_f64 v[11:12], v[126:127], s[2:3], v[22:23]
	v_fma_f64 v[22:23], v[5:6], s[6:7], -v[22:23]
	v_mul_f64 v[5:6], v[5:6], s[6:7]
	s_delay_alu instid0(VALU_DEP_4) | instskip(NEXT) | instid1(VALU_DEP_4)
	v_add_f64 v[9:10], v[9:10], v[7:8]
	v_fma_f64 v[213:214], v[128:129], s[0:1], v[11:12]
	ds_load_b64 v[158:159], v255 offset:18816
	ds_load_2addr_b64 v[12:15], v255 offset1:49
	ds_load_2addr_b64 v[28:31], v90 offset0:38 offset1:87
	ds_load_2addr_b64 v[32:35], v69 offset0:84 offset1:133
	v_mov_b32_e32 v11, v67
	v_fma_f64 v[5:6], v[126:127], s[14:15], -v[5:6]
	s_delay_alu instid0(VALU_DEP_2)
	v_mov_b32_e32 v72, v11
	s_waitcnt lgkmcnt(0)
	scratch_store_b128 off, v[32:35], off offset:36 ; 16-byte Folded Spill
	ds_load_2addr_b64 v[32:35], v199 offset0:92 offset1:141
	scratch_store_b128 off, v[28:31], off offset:68 ; 16-byte Folded Spill
	ds_load_2addr_b64 v[28:31], v163 offset0:174 offset1:223
	v_fma_f64 v[5:6], v[128:129], s[0:1], v[5:6]
	s_waitcnt lgkmcnt(1)
	scratch_store_b128 off, v[32:35], off offset:20 ; 16-byte Folded Spill
	s_waitcnt lgkmcnt(0)
	scratch_store_b128 off, v[28:31], off offset:252 ; 16-byte Folded Spill
	ds_load_2addr_b64 v[48:51], v71 offset0:130 offset1:179
	ds_load_2addr_b64 v[28:31], v190 offset0:10 offset1:59
	ds_load_2addr_b64 v[40:43], v250 offset0:54 offset1:103
	ds_load_2addr_b64 v[44:47], v255 offset0:98 offset1:147
	ds_load_2addr_b64 v[52:55], v190 offset0:108 offset1:157
	s_waitcnt lgkmcnt(3)
	scratch_store_b128 off, v[28:31], off offset:284 ; 16-byte Folded Spill
	ds_load_2addr_b64 v[28:31], v90 offset0:136 offset1:185
	s_waitcnt lgkmcnt(3)
	scratch_store_b128 off, v[40:43], off offset:52 ; 16-byte Folded Spill
	s_waitcnt lgkmcnt(2)
	scratch_store_b128 off, v[44:47], off offset:236 ; 16-byte Folded Spill
	;; [unrolled: 2-line block ×3, first 2 shown]
	ds_load_2addr_b64 v[28:31], v70 offset0:100 offset1:149
	s_waitcnt lgkmcnt(0)
	scratch_store_b128 off, v[28:31], off offset:300 ; 16-byte Folded Spill
	ds_load_2addr_b64 v[28:31], v254 offset0:16 offset1:65
	s_waitcnt lgkmcnt(0)
	scratch_store_b128 off, v[28:31], off offset:332 ; 16-byte Folded Spill
	ds_load_2addr_b64 v[28:31], v199 offset0:190 offset1:239
	v_mov_b32_e32 v199, v163
	s_waitcnt lgkmcnt(0)
	scratch_store_b128 off, v[28:31], off offset:316 ; 16-byte Folded Spill
	ds_load_2addr_b64 v[64:67], v67 offset0:106 offset1:155
	ds_load_2addr_b64 v[56:59], v250 offset0:152 offset1:201
	ds_load_2addr_b64 v[60:63], v162 offset0:70 offset1:119
	ds_load_2addr_b64 v[68:71], v255 offset0:196 offset1:245
	s_waitcnt lgkmcnt(0)
	scratch_store_b128 off, v[68:71], off offset:220 ; 16-byte Folded Spill
	ds_load_2addr_b64 v[28:31], v254 offset0:114 offset1:163
	ds_load_2addr_b64 v[68:71], v76 offset0:32 offset1:81
	ds_load_2addr_b64 v[36:39], v190 offset0:206 offset1:255
	ds_load_2addr_b64 v[44:47], v163 offset0:76 offset1:125
	ds_load_2addr_b64 v[40:43], v253 offset0:122 offset1:171
	ds_load_2addr_b64 v[32:35], v162 offset0:168 offset1:217
	v_add_f64 v[253:254], v[9:10], -v[213:214]
	s_waitcnt lgkmcnt(0)
	s_waitcnt_vscnt null, 0x0
	s_barrier
	buffer_gl0_inv
	ds_store_2addr_b64 v25, v[106:107], v[253:254] offset0:174 offset1:223
	v_add_f64 v[106:107], v[112:113], -v[110:111]
	v_mul_f64 v[110:111], v[116:117], s[22:23]
	s_delay_alu instid0(VALU_DEP_2) | instskip(NEXT) | instid1(VALU_DEP_2)
	v_fma_f64 v[20:21], v[106:107], s[16:17], -v[20:21]
	v_fma_f64 v[110:111], v[106:107], s[12:13], -v[110:111]
	s_delay_alu instid0(VALU_DEP_1) | instskip(NEXT) | instid1(VALU_DEP_3)
	v_add_f64 v[106:107], v[110:111], v[7:8]
	v_add_f64 v[7:8], v[20:21], v[7:8]
	v_fma_f64 v[20:21], v[128:129], s[0:1], v[22:23]
	s_delay_alu instid0(VALU_DEP_2) | instskip(NEXT) | instid1(VALU_DEP_2)
	v_add_f64 v[110:111], v[7:8], -v[5:6]
	v_add_f64 v[22:23], v[20:21], v[106:107]
	v_add_f64 v[20:21], v[106:107], -v[20:21]
	v_add_f64 v[5:6], v[5:6], v[7:8]
	v_add_f64 v[7:8], v[166:167], v[74:75]
	v_add_f64 v[106:107], v[120:121], -v[95:96]
	ds_store_2addr_b64 v24, v[110:111], v[22:23] offset0:16 offset1:65
	v_add_f64 v[22:23], v[168:169], -v[78:79]
	ds_store_2addr_b64 v24, v[20:21], v[5:6] offset0:114 offset1:163
	v_add_f64 v[5:6], v[86:87], v[211:212]
	v_add_f64 v[20:21], v[209:210], -v[80:81]
	v_add_f64 v[24:25], v[215:216], v[191:192]
	v_add_f64 v[116:117], v[106:107], -v[22:23]
	v_add_f64 v[114:115], v[106:107], v[22:23]
	v_add_f64 v[110:111], v[7:8], v[5:6]
	v_add_f64 v[106:107], v[20:21], -v[106:107]
	v_add_f64 v[112:113], v[5:6], -v[24:25]
	;; [unrolled: 1-line block ×3, first 2 shown]
	v_mul_f64 v[116:117], v[116:117], s[18:19]
	v_add_f64 v[114:115], v[114:115], v[20:21]
	v_add_f64 v[110:111], v[24:25], v[110:111]
	v_add_f64 v[24:25], v[24:25], -v[7:8]
	v_add_f64 v[7:8], v[22:23], -v[20:21]
	v_mul_f64 v[112:113], v[112:113], s[10:11]
	v_fma_f64 v[128:129], v[106:107], s[2:3], v[116:117]
	v_add_f64 v[108:109], v[108:109], v[110:111]
	v_mul_f64 v[20:21], v[24:25], s[22:23]
	v_fma_f64 v[22:23], v[7:8], s[6:7], -v[116:117]
	v_mul_f64 v[7:8], v[7:8], s[6:7]
	v_fma_f64 v[126:127], v[24:25], s[22:23], v[112:113]
	v_fma_f64 v[128:129], v[114:115], s[0:1], v[128:129]
	;; [unrolled: 1-line block ×3, first 2 shown]
	v_fma_f64 v[20:21], v[5:6], s[12:13], -v[20:21]
	v_fma_f64 v[5:6], v[5:6], s[16:17], -v[112:113]
	;; [unrolled: 1-line block ×3, first 2 shown]
	v_fma_f64 v[22:23], v[114:115], s[0:1], v[22:23]
	v_add_f64 v[126:127], v[126:127], v[110:111]
	v_add_f64 v[20:21], v[20:21], v[110:111]
	;; [unrolled: 1-line block ×3, first 2 shown]
	v_fma_f64 v[7:8], v[114:115], s[0:1], v[7:8]
	s_delay_alu instid0(VALU_DEP_4) | instskip(NEXT) | instid1(VALU_DEP_4)
	v_add_f64 v[150:151], v[126:127], -v[128:129]
	v_add_f64 v[24:25], v[22:23], v[20:21]
	v_add_f64 v[20:21], v[20:21], -v[22:23]
	s_delay_alu instid0(VALU_DEP_4)
	v_add_f64 v[106:107], v[5:6], -v[7:8]
	v_add_f64 v[5:6], v[7:8], v[5:6]
	v_add_f64 v[7:8], v[223:224], v[246:247]
	v_add_f64 v[22:23], v[248:249], -v[233:234]
	ds_store_2addr_b64 v146, v[108:109], v[150:151] offset0:5 offset1:54
	ds_store_2addr_b64 v146, v[106:107], v[24:25] offset0:103 offset1:152
	;; [unrolled: 1-line block ×3, first 2 shown]
	v_add_f64 v[5:6], v[203:204], v[193:194]
	v_add_f64 v[24:25], v[164:165], v[88:89]
	v_add_f64 v[106:107], v[225:226], -v[143:144]
	v_add_f64 v[20:21], v[205:206], -v[122:123]
	s_delay_alu instid0(VALU_DEP_4) | instskip(NEXT) | instid1(VALU_DEP_4)
	v_add_f64 v[108:109], v[7:8], v[5:6]
	v_add_f64 v[110:111], v[5:6], -v[24:25]
	s_delay_alu instid0(VALU_DEP_4)
	v_add_f64 v[114:115], v[106:107], -v[22:23]
	v_add_f64 v[112:113], v[106:107], v[22:23]
	v_add_f64 v[106:107], v[20:21], -v[106:107]
	v_add_f64 v[5:6], v[7:8], -v[5:6]
	v_add_f64 v[108:109], v[24:25], v[108:109]
	v_add_f64 v[24:25], v[24:25], -v[7:8]
	v_mul_f64 v[110:111], v[110:111], s[10:11]
	v_mul_f64 v[114:115], v[114:115], s[18:19]
	v_add_f64 v[7:8], v[22:23], -v[20:21]
	v_add_f64 v[112:113], v[112:113], v[20:21]
	v_add_f64 v[102:103], v[102:103], v[108:109]
	v_mul_f64 v[20:21], v[24:25], s[22:23]
	v_fma_f64 v[116:117], v[24:25], s[22:23], v[110:111]
	v_fma_f64 v[148:149], v[106:107], s[2:3], v[114:115]
	v_fma_f64 v[22:23], v[7:8], s[6:7], -v[114:115]
	v_mul_f64 v[7:8], v[7:8], s[6:7]
	v_fma_f64 v[108:109], v[108:109], s[20:21], v[102:103]
	v_fma_f64 v[20:21], v[5:6], s[12:13], -v[20:21]
	v_fma_f64 v[5:6], v[5:6], s[16:17], -v[110:111]
	v_fma_f64 v[148:149], v[112:113], s[0:1], v[148:149]
	v_fma_f64 v[22:23], v[112:113], s[0:1], v[22:23]
	v_fma_f64 v[7:8], v[106:107], s[14:15], -v[7:8]
	v_add_f64 v[116:117], v[116:117], v[108:109]
	v_add_f64 v[20:21], v[20:21], v[108:109]
	v_add_f64 v[5:6], v[5:6], v[108:109]
	s_delay_alu instid0(VALU_DEP_4) | instskip(NEXT) | instid1(VALU_DEP_4)
	v_fma_f64 v[7:8], v[112:113], s[0:1], v[7:8]
	v_add_f64 v[150:151], v[116:117], -v[148:149]
	s_delay_alu instid0(VALU_DEP_4)
	v_add_f64 v[24:25], v[22:23], v[20:21]
	v_add_f64 v[20:21], v[20:21], -v[22:23]
	v_add_f64 v[22:23], v[240:241], -v[82:83]
	ds_store_2addr_b64 v187, v[102:103], v[150:151] offset0:92 offset1:141
	v_add_f64 v[102:103], v[5:6], -v[7:8]
	v_add_f64 v[5:6], v[7:8], v[5:6]
	v_add_f64 v[7:8], v[170:171], v[182:183]
	ds_store_2addr_b64 v187, v[102:103], v[24:25] offset0:190 offset1:239
	ds_store_2addr_b64 v27, v[20:21], v[5:6] offset0:32 offset1:81
	v_add_f64 v[5:6], v[176:177], v[174:175]
	v_add_f64 v[24:25], v[180:181], v[242:243]
	v_add_f64 v[102:103], v[229:230], -v[124:125]
	v_add_f64 v[20:21], v[235:236], -v[172:173]
	s_delay_alu instid0(VALU_DEP_4) | instskip(NEXT) | instid1(VALU_DEP_4)
	v_add_f64 v[106:107], v[7:8], v[5:6]
	v_add_f64 v[108:109], v[5:6], -v[24:25]
	s_delay_alu instid0(VALU_DEP_4)
	v_add_f64 v[112:113], v[102:103], -v[22:23]
	v_add_f64 v[110:111], v[102:103], v[22:23]
	v_add_f64 v[102:103], v[20:21], -v[102:103]
	v_add_f64 v[106:107], v[24:25], v[106:107]
	v_add_f64 v[24:25], v[24:25], -v[7:8]
	v_mul_f64 v[108:109], v[108:109], s[10:11]
	v_mul_f64 v[112:113], v[112:113], s[18:19]
	v_add_f64 v[110:111], v[110:111], v[20:21]
	v_add_f64 v[104:105], v[104:105], v[106:107]
	s_delay_alu instid0(VALU_DEP_4) | instskip(NEXT) | instid1(VALU_DEP_4)
	v_fma_f64 v[114:115], v[24:25], s[22:23], v[108:109]
	v_fma_f64 v[120:121], v[102:103], s[2:3], v[112:113]
	s_delay_alu instid0(VALU_DEP_3) | instskip(NEXT) | instid1(VALU_DEP_2)
	v_fma_f64 v[106:107], v[106:107], s[20:21], v[104:105]
	v_fma_f64 v[120:121], v[110:111], s[0:1], v[120:121]
	s_delay_alu instid0(VALU_DEP_2) | instskip(NEXT) | instid1(VALU_DEP_1)
	v_add_f64 v[114:115], v[114:115], v[106:107]
	v_add_f64 v[124:125], v[114:115], -v[120:121]
	ds_store_2addr_b64 v4, v[104:105], v[124:125] offset0:179 offset1:228
	v_add_f64 v[4:5], v[7:8], -v[5:6]
	v_add_f64 v[6:7], v[22:23], -v[20:21]
	v_mul_f64 v[20:21], v[24:25], s[22:23]
	s_delay_alu instid0(VALU_DEP_2) | instskip(SKIP_1) | instid1(VALU_DEP_3)
	v_fma_f64 v[22:23], v[6:7], s[6:7], -v[112:113]
	v_mul_f64 v[6:7], v[6:7], s[6:7]
	v_fma_f64 v[20:21], v[4:5], s[12:13], -v[20:21]
	v_fma_f64 v[4:5], v[4:5], s[16:17], -v[108:109]
	s_delay_alu instid0(VALU_DEP_4) | instskip(NEXT) | instid1(VALU_DEP_4)
	v_fma_f64 v[22:23], v[110:111], s[0:1], v[22:23]
	v_fma_f64 v[6:7], v[102:103], s[14:15], -v[6:7]
	s_delay_alu instid0(VALU_DEP_4) | instskip(NEXT) | instid1(VALU_DEP_4)
	v_add_f64 v[20:21], v[20:21], v[106:107]
	v_add_f64 v[4:5], v[4:5], v[106:107]
	s_delay_alu instid0(VALU_DEP_3) | instskip(NEXT) | instid1(VALU_DEP_3)
	v_fma_f64 v[6:7], v[110:111], s[0:1], v[6:7]
	v_add_f64 v[24:25], v[22:23], v[20:21]
	v_add_f64 v[20:21], v[20:21], -v[22:23]
	v_add_f64 v[22:23], v[237:238], -v[139:140]
	s_delay_alu instid0(VALU_DEP_4)
	v_add_f64 v[102:103], v[4:5], -v[6:7]
	v_add_f64 v[4:5], v[6:7], v[4:5]
	v_add_f64 v[6:7], v[184:185], v[97:98]
	ds_store_2addr_b64 v26, v[102:103], v[24:25] offset0:21 offset1:70
	ds_store_2addr_b64 v26, v[20:21], v[4:5] offset0:119 offset1:168
	v_add_f64 v[4:5], v[118:119], v[134:135]
	v_add_f64 v[26:27], v[91:92], -v[251:252]
	v_add_f64 v[20:21], v[207:208], -v[154:155]
	v_add_f64 v[24:25], v[178:179], v[93:94]
	s_delay_alu instid0(VALU_DEP_4) | instskip(NEXT) | instid1(VALU_DEP_4)
	v_add_f64 v[102:103], v[6:7], v[4:5]
	v_add_f64 v[108:109], v[26:27], -v[22:23]
	v_add_f64 v[106:107], v[26:27], v[22:23]
	s_delay_alu instid0(VALU_DEP_4)
	v_add_f64 v[104:105], v[4:5], -v[24:25]
	v_add_f64 v[4:5], v[6:7], -v[4:5]
	;; [unrolled: 1-line block ×3, first 2 shown]
	v_add_f64 v[102:103], v[24:25], v[102:103]
	v_add_f64 v[24:25], v[24:25], -v[6:7]
	v_mul_f64 v[108:109], v[108:109], s[18:19]
	v_add_f64 v[6:7], v[22:23], -v[20:21]
	v_mul_f64 v[104:105], v[104:105], s[10:11]
	v_add_f64 v[106:107], v[106:107], v[20:21]
	v_add_f64 v[100:101], v[100:101], v[102:103]
	v_mul_f64 v[20:21], v[24:25], s[22:23]
	v_fma_f64 v[112:113], v[26:27], s[2:3], v[108:109]
	v_fma_f64 v[22:23], v[6:7], s[6:7], -v[108:109]
	v_mul_f64 v[6:7], v[6:7], s[6:7]
	v_fma_f64 v[110:111], v[24:25], s[22:23], v[104:105]
	v_fma_f64 v[102:103], v[102:103], s[20:21], v[100:101]
	v_fma_f64 v[20:21], v[4:5], s[12:13], -v[20:21]
	v_fma_f64 v[4:5], v[4:5], s[16:17], -v[104:105]
	v_fma_f64 v[112:113], v[106:107], s[0:1], v[112:113]
	v_fma_f64 v[6:7], v[26:27], s[14:15], -v[6:7]
	v_fma_f64 v[22:23], v[106:107], s[0:1], v[22:23]
	v_add_f64 v[110:111], v[110:111], v[102:103]
	v_add_f64 v[20:21], v[20:21], v[102:103]
	;; [unrolled: 1-line block ×3, first 2 shown]
	v_fma_f64 v[6:7], v[106:107], s[0:1], v[6:7]
	s_delay_alu instid0(VALU_DEP_4) | instskip(NEXT) | instid1(VALU_DEP_4)
	v_add_f64 v[122:123], v[110:111], -v[112:113]
	v_add_f64 v[24:25], v[22:23], v[20:21]
	v_add_f64 v[20:21], v[20:21], -v[22:23]
	s_delay_alu instid0(VALU_DEP_4)
	v_add_f64 v[26:27], v[4:5], -v[6:7]
	v_add_f64 v[4:5], v[6:7], v[4:5]
	ds_store_2addr_b64 v1, v[100:101], v[122:123] offset0:10 offset1:59
	ds_store_2addr_b64 v1, v[26:27], v[24:25] offset0:108 offset1:157
	;; [unrolled: 1-line block ×3, first 2 shown]
	s_clause 0x1
	scratch_load_b64 v[4:5], off, off offset:172
	scratch_load_b64 v[6:7], off, off offset:180
	s_waitcnt vmcnt(0)
	v_add_f64 v[4:5], v[4:5], v[6:7]
	s_clause 0x1
	scratch_load_b64 v[6:7], off, off offset:156
	scratch_load_b64 v[16:17], off, off offset:164
	s_waitcnt vmcnt(0)
	v_add_f64 v[6:7], v[16:17], v[6:7]
	s_clause 0x1
	scratch_load_b64 v[18:19], off, off offset:84
	scratch_load_b64 v[16:17], off, off offset:132
	v_add_f64 v[100:101], v[6:7], v[4:5]
	s_waitcnt vmcnt(0)
	v_add_f64 v[20:21], v[16:17], -v[18:19]
	s_clause 0x1
	scratch_load_b64 v[18:19], off, off offset:100
	scratch_load_b64 v[22:23], off, off offset:108
	s_waitcnt vmcnt(0)
	v_add_f64 v[22:23], v[22:23], -v[18:19]
	s_clause 0x1
	scratch_load_b64 v[16:17], off, off offset:140
	scratch_load_b64 v[18:19], off, off offset:148
	s_waitcnt vmcnt(0)
	v_add_f64 v[24:25], v[16:17], v[18:19]
	s_clause 0x2
	scratch_load_b64 v[18:19], off, off offset:116
	scratch_load_b64 v[26:27], off, off offset:124
	;; [unrolled: 1-line block ×3, first 2 shown]
	v_add_f64 v[100:101], v[24:25], v[100:101]
	v_add_f64 v[102:103], v[4:5], -v[24:25]
	v_add_f64 v[24:25], v[24:25], -v[6:7]
	;; [unrolled: 1-line block ×4, first 2 shown]
	v_add_f64 v[96:97], v[217:218], v[100:101]
	v_mul_f64 v[102:103], v[102:103], s[10:11]
	s_delay_alu instid0(VALU_DEP_2) | instskip(NEXT) | instid1(VALU_DEP_2)
	v_fma_f64 v[100:101], v[100:101], s[20:21], v[96:97]
	v_fma_f64 v[108:109], v[24:25], s[22:23], v[102:103]
	s_delay_alu instid0(VALU_DEP_1) | instskip(SKIP_2) | instid1(VALU_DEP_1)
	v_add_f64 v[108:109], v[108:109], v[100:101]
	s_waitcnt vmcnt(1)
	v_add_f64 v[26:27], v[26:27], -v[18:19]
	v_add_f64 v[104:105], v[26:27], v[22:23]
	v_add_f64 v[106:107], v[26:27], -v[22:23]
	v_add_f64 v[26:27], v[20:21], -v[26:27]
	v_mul_f64 v[22:23], v[6:7], s[6:7]
	s_delay_alu instid0(VALU_DEP_4) | instskip(NEXT) | instid1(VALU_DEP_4)
	v_add_f64 v[104:105], v[104:105], v[20:21]
	v_mul_f64 v[106:107], v[106:107], s[18:19]
	v_mul_f64 v[20:21], v[24:25], s[22:23]
	s_delay_alu instid0(VALU_DEP_4) | instskip(NEXT) | instid1(VALU_DEP_3)
	v_fma_f64 v[22:23], v[26:27], s[14:15], -v[22:23]
	v_fma_f64 v[6:7], v[6:7], s[6:7], -v[106:107]
	s_delay_alu instid0(VALU_DEP_3) | instskip(SKIP_1) | instid1(VALU_DEP_4)
	v_fma_f64 v[20:21], v[4:5], s[12:13], -v[20:21]
	v_fma_f64 v[4:5], v[4:5], s[16:17], -v[102:103]
	v_fma_f64 v[22:23], v[104:105], s[0:1], v[22:23]
	v_fma_f64 v[118:119], v[26:27], s[2:3], v[106:107]
	;; [unrolled: 1-line block ×3, first 2 shown]
	v_add_f64 v[20:21], v[20:21], v[100:101]
	v_add_f64 v[4:5], v[4:5], v[100:101]
	s_delay_alu instid0(VALU_DEP_4) | instskip(NEXT) | instid1(VALU_DEP_3)
	v_fma_f64 v[118:119], v[104:105], s[0:1], v[118:119]
	v_add_f64 v[26:27], v[6:7], v[20:21]
	s_delay_alu instid0(VALU_DEP_3)
	v_add_f64 v[24:25], v[4:5], -v[22:23]
	v_add_f64 v[6:7], v[20:21], -v[6:7]
	v_add_f64 v[4:5], v[22:23], v[4:5]
	v_add_f64 v[122:123], v[108:109], -v[118:119]
	v_add_f64 v[20:21], v[118:119], v[108:109]
	v_add_f64 v[22:23], v[201:202], -v[197:198]
	ds_store_2addr_b64 v255, v[24:25], v[26:27] offset0:98 offset1:147
	v_add_f64 v[26:27], v[188:189], v[160:161]
	ds_store_2addr_b64 v255, v[6:7], v[4:5] offset0:196 offset1:245
	v_add_f64 v[4:5], v[132:133], v[130:131]
	v_add_f64 v[6:7], v[136:137], v[141:142]
	ds_store_2addr_b64 v255, v[96:97], v[122:123] offset1:49
	v_add_f64 v[24:25], v[195:196], -v[221:222]
	s_waitcnt vmcnt(0)
	v_add_f64 v[96:97], v[156:157], -v[16:17]
	v_add_f64 v[100:101], v[6:7], v[4:5]
	v_add_f64 v[102:103], v[6:7], -v[4:5]
	v_add_f64 v[4:5], v[4:5], -v[26:27]
	;; [unrolled: 1-line block ×3, first 2 shown]
	v_add_f64 v[98:99], v[96:97], v[24:25]
	v_add_f64 v[104:105], v[96:97], -v[24:25]
	v_add_f64 v[96:97], v[22:23], -v[96:97]
	;; [unrolled: 1-line block ×3, first 2 shown]
	v_add_f64 v[100:101], v[26:27], v[100:101]
	v_mul_f64 v[4:5], v[4:5], s[10:11]
	v_add_f64 v[22:23], v[98:99], v[22:23]
	v_mul_f64 v[98:99], v[104:105], s[18:19]
	s_delay_alu instid0(VALU_DEP_4)
	v_add_f64 v[26:27], v[219:220], v[100:101]
	ds_store_2addr_b64 v90, v[20:21], v[26:27] offset0:38 offset1:87
	v_fma_f64 v[20:21], v[100:101], s[20:21], v[26:27]
	v_fma_f64 v[26:27], v[6:7], s[22:23], v[4:5]
	v_mul_f64 v[6:7], v[6:7], s[22:23]
	v_fma_f64 v[4:5], v[102:103], s[16:17], -v[4:5]
	v_mul_f64 v[100:101], v[24:25], s[6:7]
	v_fma_f64 v[24:25], v[24:25], s[6:7], -v[98:99]
	v_add_f64 v[26:27], v[26:27], v[20:21]
	v_fma_f64 v[6:7], v[102:103], s[12:13], -v[6:7]
	v_add_f64 v[4:5], v[4:5], v[20:21]
	v_fma_f64 v[100:101], v[96:97], s[14:15], -v[100:101]
	v_fma_f64 v[96:97], v[96:97], s[2:3], v[98:99]
	s_delay_alu instid0(VALU_DEP_4) | instskip(SKIP_1) | instid1(VALU_DEP_4)
	v_add_f64 v[6:7], v[6:7], v[20:21]
	v_fma_f64 v[20:21], v[22:23], s[0:1], v[24:25]
	v_fma_f64 v[100:101], v[22:23], s[0:1], v[100:101]
	s_delay_alu instid0(VALU_DEP_4) | instskip(NEXT) | instid1(VALU_DEP_3)
	v_fma_f64 v[96:97], v[22:23], s[0:1], v[96:97]
	v_add_f64 v[22:23], v[20:21], v[6:7]
	v_add_f64 v[6:7], v[6:7], -v[20:21]
	s_delay_alu instid0(VALU_DEP_4)
	v_add_f64 v[104:105], v[4:5], -v[100:101]
	v_add_f64 v[4:5], v[100:101], v[4:5]
	v_add_f64 v[106:107], v[26:27], -v[96:97]
	ds_store_2addr_b64 v11, v[22:23], v[6:7] offset0:106 offset1:155
	v_add_f64 v[6:7], v[96:97], v[26:27]
	ds_store_2addr_b64 v90, v[106:107], v[104:105] offset0:136 offset1:185
	ds_store_2addr_b64 v163, v[4:5], v[6:7] offset0:76 offset1:125
	v_add_f64 v[4:5], v[213:214], v[9:10]
	v_add_f64 v[6:7], v[128:129], v[126:127]
	ds_store_b64 v138, v[4:5] offset:7840
	ds_store_b64 v147, v[6:7] offset:10584
	v_add_f64 v[4:5], v[148:149], v[116:117]
	v_add_f64 v[6:7], v[120:121], v[114:115]
	ds_store_b64 v2, v[4:5] offset:13328
	ds_store_b64 v3, v[6:7] offset:16072
	v_add_f64 v[1:2], v[112:113], v[110:111]
	ds_store_b64 v0, v[1:2] offset:18816
	s_waitcnt lgkmcnt(0)
	s_barrier
	buffer_gl0_inv
	s_and_saveexec_b32 s24, vcc_lo
	s_cbranch_execz .LBB0_13
; %bb.12:
	scratch_load_b32 v200, off, off offset:16 ; 4-byte Folded Reload
	v_add_co_u32 v98, s24, s4, v239
	s_delay_alu instid0(VALU_DEP_1) | instskip(SKIP_1) | instid1(VALU_DEP_3)
	v_add_co_ci_u32_e64 v99, null, s5, 0, s24
	v_dual_mov_b32 v114, 0 :: v_dual_mov_b32 v215, v186
	v_add_co_u32 v8, vcc_lo, 0x1000, v98
	s_delay_alu instid0(VALU_DEP_3)
	v_add_co_ci_u32_e32 v9, vcc_lo, 0, v99, vcc_lo
	scratch_store_b128 off, v[12:15], off offset:84 ; 16-byte Folded Spill
	v_dual_mov_b32 v232, v114 :: v_dual_mov_b32 v217, v159
	v_mov_b32_e32 v216, v158
	s_waitcnt vmcnt(0)
	v_mul_u32_u24_e32 v0, 6, v200
	v_mad_u32_u24 v113, v200, 6, 0xfffffeda
	v_mov_b32_e32 v16, v200
	s_delay_alu instid0(VALU_DEP_3) | instskip(NEXT) | instid1(VALU_DEP_3)
	v_lshlrev_b32_e32 v0, 4, v0
	v_lshlrev_b64 v[20:21], 4, v[113:114]
	v_mad_u32_u24 v113, v200, 6, 0xfffffdb4
	s_delay_alu instid0(VALU_DEP_3) | instskip(SKIP_3) | instid1(VALU_DEP_2)
	v_add_co_u32 v96, s24, s4, v0
	global_load_b128 v[0:3], v[8:9], off offset:1344
	v_add_co_ci_u32_e64 v97, null, s5, 0, s24
	v_add_co_u32 v10, vcc_lo, 0x1500, v96
	v_add_co_ci_u32_e32 v11, vcc_lo, 0, v97, vcc_lo
	v_add_co_u32 v12, vcc_lo, s4, v20
	v_add_co_ci_u32_e32 v13, vcc_lo, s5, v21, vcc_lo
	global_load_b128 v[4:7], v[10:11], off offset:48
	v_add_co_u32 v20, vcc_lo, 0x1000, v96
	v_add_co_ci_u32_e32 v21, vcc_lo, 0, v97, vcc_lo
	v_add_co_u32 v22, vcc_lo, 0x1000, v12
	v_add_co_ci_u32_e32 v23, vcc_lo, 0, v13, vcc_lo
	s_clause 0x2
	global_load_b128 v[24:27], v[20:21], off offset:1280
	global_load_b128 v[100:103], v[22:23], off offset:1280
	;; [unrolled: 1-line block ×3, first 2 shown]
	v_add_co_u32 v20, vcc_lo, 0x1500, v12
	v_add_co_ci_u32_e32 v21, vcc_lo, 0, v13, vcc_lo
	s_clause 0x2
	global_load_b128 v[119:122], v[10:11], off offset:32
	global_load_b128 v[123:126], v[22:23], off offset:1344
	;; [unrolled: 1-line block ×3, first 2 shown]
	v_add_co_u32 v22, vcc_lo, 0x1540, v12
	v_add_co_ci_u32_e32 v23, vcc_lo, 0, v13, vcc_lo
	global_load_b128 v[131:134], v[22:23], off offset:16
	v_lshlrev_b64 v[22:23], 4, v[113:114]
	v_mad_u32_u24 v113, v200, 6, 0xfffffc8e
	s_delay_alu instid0(VALU_DEP_2) | instskip(NEXT) | instid1(VALU_DEP_3)
	v_add_co_u32 v12, vcc_lo, s4, v22
	v_add_co_ci_u32_e32 v13, vcc_lo, s5, v23, vcc_lo
	s_delay_alu instid0(VALU_DEP_2) | instskip(NEXT) | instid1(VALU_DEP_2)
	v_add_co_u32 v22, vcc_lo, 0x1540, v12
	v_add_co_ci_u32_e32 v23, vcc_lo, 0, v13, vcc_lo
	s_clause 0x1
	global_load_b128 v[135:138], v[22:23], off offset:16
	global_load_b128 v[139:142], v[20:21], off offset:16
	v_add_co_u32 v22, vcc_lo, 0x1500, v12
	v_add_co_ci_u32_e32 v23, vcc_lo, 0, v13, vcc_lo
	s_clause 0x1
	global_load_b128 v[143:146], v[22:23], off offset:16
	global_load_b128 v[147:150], v[20:21], off offset:48
	v_lshlrev_b64 v[20:21], 4, v[113:114]
	global_load_b128 v[151:154], v[22:23], off offset:48
	v_mad_u32_u24 v113, v200, 6, 0xfffffb68
	v_add_nc_u32_e32 v200, 0x4000, v255
	v_add_co_u32 v14, vcc_lo, s4, v20
	v_add_co_ci_u32_e32 v15, vcc_lo, s5, v21, vcc_lo
	v_add_co_u32 v20, vcc_lo, 0x1000, v12
	v_add_co_ci_u32_e32 v21, vcc_lo, 0, v13, vcc_lo
	s_delay_alu instid0(VALU_DEP_4) | instskip(NEXT) | instid1(VALU_DEP_4)
	v_add_co_u32 v104, vcc_lo, 0x1000, v14
	v_add_co_ci_u32_e32 v105, vcc_lo, 0, v15, vcc_lo
	s_clause 0x3
	global_load_b128 v[155:158], v[20:21], off offset:1280
	global_load_b128 v[159:162], v[104:105], off offset:1280
	global_load_b128 v[163:166], v[20:21], off offset:1344
	global_load_b128 v[167:170], v[104:105], off offset:1344
	v_add_co_u32 v20, vcc_lo, 0x1500, v14
	v_add_co_ci_u32_e32 v21, vcc_lo, 0, v15, vcc_lo
	s_clause 0x1
	global_load_b128 v[171:174], v[22:23], off offset:32
	global_load_b128 v[175:178], v[20:21], off offset:32
	v_lshlrev_b64 v[22:23], 4, v[113:114]
	s_delay_alu instid0(VALU_DEP_1) | instskip(NEXT) | instid1(VALU_DEP_2)
	v_add_co_u32 v12, vcc_lo, s4, v22
	v_add_co_ci_u32_e32 v13, vcc_lo, s5, v23, vcc_lo
	v_add_co_u32 v22, vcc_lo, 0x1540, v14
	v_add_co_ci_u32_e32 v23, vcc_lo, 0, v15, vcc_lo
	s_delay_alu instid0(VALU_DEP_4)
	v_add_co_u32 v104, vcc_lo, 0x1540, v12
	v_add_nc_u32_e32 v15, 0x3000, v255
	v_add_co_ci_u32_e32 v105, vcc_lo, 0, v13, vcc_lo
	s_clause 0x1
	global_load_b128 v[179:182], v[22:23], off offset:16
	global_load_b128 v[183:186], v[104:105], off offset:16
	ds_load_2addr_b64 v[115:118], v15 offset0:130 offset1:179
	v_add_co_u32 v22, vcc_lo, 0x1540, v98
	v_add_co_ci_u32_e32 v23, vcc_lo, 0, v99, vcc_lo
	global_load_b128 v[201:204], v[20:21], off offset:16
	ds_load_2addr_b64 v[189:192], v199 offset0:76 offset1:125
	v_add_co_u32 v221, vcc_lo, 0x1500, v12
	global_load_b128 v[193:196], v[22:23], off offset:16
	v_add_co_ci_u32_e32 v222, vcc_lo, 0, v13, vcc_lo
	v_add_co_u32 v205, vcc_lo, 0x1540, v96
	v_add_nc_u32_e32 v14, 0x3800, v255
	v_add_co_ci_u32_e32 v206, vcc_lo, 0, v97, vcc_lo
	global_load_b128 v[205:208], v[205:206], off offset:16
	s_waitcnt vmcnt(24) lgkmcnt(1)
	v_mul_f64 v[22:23], v[2:3], v[117:118]
	v_mul_f64 v[104:105], v[0:1], v[117:118]
	s_waitcnt vmcnt(23)
	v_mul_f64 v[106:107], v[6:7], v[115:116]
	v_mul_f64 v[112:113], v[4:5], v[115:116]
	s_waitcnt vmcnt(22) lgkmcnt(0)
	v_mul_f64 v[187:188], v[26:27], v[191:192]
	v_mul_f64 v[197:198], v[24:25], v[191:192]
	s_waitcnt vmcnt(21)
	v_mul_f64 v[213:214], v[102:103], v[189:190]
	v_mul_f64 v[219:220], v[100:101], v[189:190]
	ds_load_2addr_b64 v[189:192], v14 offset0:168 offset1:217
	v_fma_f64 v[0:1], v[50:51], v[0:1], -v[22:23]
	s_waitcnt vmcnt(20) lgkmcnt(0)
	v_mul_f64 v[22:23], v[110:111], v[191:192]
	v_fma_f64 v[96:97], v[48:49], v[4:5], -v[106:107]
	v_add_nc_u32_e32 v4, 0x2400, v255
	v_fma_f64 v[90:91], v[48:49], v[6:7], v[112:113]
	s_waitcnt vmcnt(18)
	v_mul_f64 v[112:113], v[123:124], v[189:190]
	ds_load_2addr_b64 v[4:7], v4 offset0:122 offset1:171
	v_fma_f64 v[106:107], v[46:47], v[24:25], -v[187:188]
	v_fma_f64 v[187:188], v[46:47], v[26:27], v[197:198]
	v_add_co_u32 v197, vcc_lo, 0x1500, v98
	v_fma_f64 v[88:89], v[44:45], v[102:103], v[219:220]
	v_mul_f64 v[102:103], v[125:126], v[189:190]
	v_add_co_ci_u32_e32 v198, vcc_lo, 0, v99, vcc_lo
	scratch_store_b64 off, v[0:1], off offset:100 ; 8-byte Folded Spill
	v_fma_f64 v[0:1], v[50:51], v[2:3], v[104:105]
	v_mul_f64 v[104:105], v[108:109], v[191:192]
	s_waitcnt vmcnt(17) lgkmcnt(0)
	v_mul_f64 v[189:190], v[129:130], v[4:5]
	v_mul_f64 v[191:192], v[127:128], v[4:5]
	v_fma_f64 v[22:23], v[34:35], v[108:109], -v[22:23]
	v_fma_f64 v[219:220], v[32:33], v[125:126], v[112:113]
	scratch_store_b64 off, v[0:1], off offset:108 ; 8-byte Folded Spill
	s_clause 0x2
	global_load_b128 v[0:3], v[221:222], off offset:16
	global_load_b128 v[24:27], v[10:11], off offset:16
	;; [unrolled: 1-line block ×3, first 2 shown]
	v_fma_f64 v[10:11], v[44:45], v[100:101], -v[213:214]
	v_mul_f64 v[20:21], v[121:122], v[6:7]
	v_mul_f64 v[100:101], v[119:120], v[6:7]
	ds_load_2addr_b64 v[80:83], v215 offset0:114 offset1:163
	ds_load_2addr_b64 v[92:95], v200 offset0:206 offset1:255
	v_fma_f64 v[108:109], v[34:35], v[110:111], v[104:105]
	v_fma_f64 v[213:214], v[32:33], v[123:124], -v[102:103]
	global_load_b128 v[84:87], v[8:9], off offset:1280
	v_add_co_u32 v110, vcc_lo, 0x1000, v12
	v_add_co_ci_u32_e32 v111, vcc_lo, 0, v13, vcc_lo
	ds_load_2addr_b64 v[74:77], v72 offset0:106 offset1:155
	v_fma_f64 v[127:128], v[40:41], v[127:128], -v[189:190]
	v_fma_f64 v[129:130], v[40:41], v[129:130], v[191:192]
	global_load_b128 v[4:7], v[221:222], off offset:48
	s_waitcnt vmcnt(19) lgkmcnt(2)
	v_mul_f64 v[112:113], v[141:142], v[82:83]
	v_mul_f64 v[82:83], v[139:140], v[82:83]
	s_waitcnt lgkmcnt(1)
	v_mul_f64 v[102:103], v[137:138], v[92:93]
	v_mul_f64 v[104:105], v[135:136], v[92:93]
	v_fma_f64 v[20:21], v[42:43], v[119:120], -v[20:21]
	v_fma_f64 v[223:224], v[42:43], v[121:122], v[100:101]
	s_waitcnt vmcnt(18)
	v_mul_f64 v[119:120], v[145:146], v[80:81]
	v_mul_f64 v[121:122], v[143:144], v[80:81]
	global_load_b128 v[98:101], v[197:198], off offset:16
	v_mul_f64 v[8:9], v[133:134], v[94:95]
	v_mul_f64 v[94:95], v[131:132], v[94:95]
	ds_load_2addr_b64 v[78:81], v15 offset0:32 offset1:81
	v_fma_f64 v[139:140], v[30:31], v[139:140], -v[112:113]
	v_fma_f64 v[141:142], v[30:31], v[141:142], v[82:83]
	v_mad_u32_u24 v113, v16, 6, 0xfffffa42
	v_add_nc_u32_e32 v16, 0x2800, v255
	s_waitcnt vmcnt(18) lgkmcnt(0)
	v_mul_f64 v[123:124], v[147:148], v[80:81]
	s_waitcnt vmcnt(17)
	v_mul_f64 v[125:126], v[153:154], v[78:79]
	v_lshlrev_b64 v[82:83], 4, v[113:114]
	s_waitcnt vmcnt(15)
	v_mul_f64 v[112:113], v[161:162], v[74:75]
	global_load_b128 v[114:117], v[197:198], off offset:48
	v_add_co_u32 v12, vcc_lo, s4, v82
	v_add_co_ci_u32_e32 v13, vcc_lo, s5, v83, vcc_lo
	v_mul_f64 v[82:83], v[157:158], v[76:77]
	v_fma_f64 v[143:144], v[28:29], v[143:144], -v[119:120]
	v_fma_f64 v[145:146], v[28:29], v[145:146], v[121:122]
	scratch_load_b128 v[28:31], off, off offset:332 ; 16-byte Folded Reload
	v_fma_f64 v[8:9], v[38:39], v[131:132], -v[8:9]
	v_fma_f64 v[131:132], v[38:39], v[133:134], v[94:95]
	global_load_b128 v[92:95], v[110:111], off offset:1280
	v_fma_f64 v[133:134], v[36:37], v[135:136], -v[102:103]
	v_fma_f64 v[135:136], v[36:37], v[137:138], v[104:105]
	global_load_b128 v[102:105], v[110:111], off offset:1344
	v_mul_f64 v[110:111], v[149:150], v[80:81]
	v_mul_f64 v[137:138], v[151:152], v[78:79]
	ds_load_2addr_b64 v[78:81], v14 offset0:70 offset1:119
	v_mul_f64 v[119:120], v[159:160], v[74:75]
	v_mul_f64 v[76:77], v[155:156], v[76:77]
	global_load_b128 v[72:75], v[221:222], off offset:32
	v_fma_f64 v[149:150], v[70:71], v[149:150], v[123:124]
	v_fma_f64 v[151:152], v[68:69], v[151:152], -v[125:126]
	v_fma_f64 v[159:160], v[64:65], v[159:160], -v[112:113]
	s_waitcnt vmcnt(19) lgkmcnt(0)
	v_mul_f64 v[123:124], v[165:166], v[80:81]
	v_mul_f64 v[80:81], v[163:164], v[80:81]
	s_waitcnt vmcnt(18)
	v_mul_f64 v[189:190], v[167:168], v[78:79]
	v_fma_f64 v[155:156], v[66:67], v[155:156], -v[82:83]
	v_fma_f64 v[147:148], v[70:71], v[147:148], -v[110:111]
	v_fma_f64 v[137:138], v[68:69], v[153:154], v[137:138]
	v_mul_f64 v[153:154], v[169:170], v[78:79]
	ds_load_2addr_b64 v[68:71], v250 offset0:152 offset1:201
	v_fma_f64 v[161:162], v[64:65], v[161:162], v[119:120]
	v_add_co_u32 v110, vcc_lo, 0x1000, v12
	v_add_co_ci_u32_e32 v111, vcc_lo, 0, v13, vcc_lo
	v_add_co_u32 v121, vcc_lo, 0x1540, v12
	v_add_co_ci_u32_e32 v122, vcc_lo, 0, v13, vcc_lo
	;; [unrolled: 2-line block ×3, first 2 shown]
	v_fma_f64 v[157:158], v[66:67], v[157:158], v[76:77]
	s_clause 0x1
	global_load_b128 v[76:79], v[110:111], off offset:1280
	global_load_b128 v[64:67], v[121:122], off offset:16
	v_add_nc_u32_e32 v12, 0x1c00, v255
	v_fma_f64 v[163:164], v[62:63], v[163:164], -v[123:124]
	v_fma_f64 v[165:166], v[62:63], v[165:166], v[80:81]
	ds_load_2addr_b64 v[80:83], v200 offset0:108 offset1:157
	s_waitcnt vmcnt(19) lgkmcnt(1)
	v_mul_f64 v[112:113], v[173:174], v[70:71]
	v_mul_f64 v[119:120], v[171:172], v[70:71]
	s_waitcnt vmcnt(18)
	v_mul_f64 v[191:192], v[175:176], v[68:69]
	v_fma_f64 v[153:154], v[60:61], v[167:168], -v[153:154]
	v_fma_f64 v[167:168], v[60:61], v[169:170], v[189:190]
	global_load_b128 v[60:63], v[125:126], off offset:16
	v_mul_f64 v[121:122], v[177:178], v[68:69]
	global_load_b128 v[68:71], v[110:111], off offset:1344
	s_waitcnt vmcnt(19) lgkmcnt(0)
	v_mul_f64 v[110:111], v[181:182], v[82:83]
	v_mul_f64 v[123:124], v[179:180], v[82:83]
	s_waitcnt vmcnt(18)
	v_mul_f64 v[169:170], v[185:186], v[80:81]
	v_mul_f64 v[189:190], v[183:184], v[80:81]
	ds_load_2addr_b64 v[80:83], v215 offset0:16 offset1:65
	v_fma_f64 v[171:172], v[58:59], v[171:172], -v[112:113]
	v_fma_f64 v[173:174], v[58:59], v[173:174], v[119:120]
	v_fma_f64 v[177:178], v[56:57], v[177:178], v[191:192]
	s_waitcnt vmcnt(17) lgkmcnt(0)
	v_mul_f64 v[112:113], v[203:204], v[82:83]
	v_mul_f64 v[82:83], v[201:202], v[82:83]
	v_fma_f64 v[175:176], v[56:57], v[175:176], -v[121:122]
	ds_load_2addr_b64 v[56:59], v16 offset0:190 offset1:239
	v_fma_f64 v[179:180], v[54:55], v[179:180], -v[110:111]
	ds_load_b64 v[110:111], v255 offset:18816
	v_fma_f64 v[169:170], v[52:53], v[183:184], -v[169:170]
	v_fma_f64 v[183:184], v[52:53], v[185:186], v[189:190]
	v_fma_f64 v[181:182], v[54:55], v[181:182], v[123:124]
	ds_load_2addr_b64 v[52:55], v200 offset0:10 offset1:59
	s_waitcnt vmcnt(15) lgkmcnt(1)
	v_mul_f64 v[191:192], v[207:208], v[110:111]
	v_mul_f64 v[221:222], v[205:206], v[110:111]
	s_delay_alu instid0(VALU_DEP_2)
	v_fma_f64 v[191:192], v[216:217], v[205:206], -v[191:192]
	s_waitcnt vmcnt(14)
	v_mul_f64 v[119:120], v[2:3], v[80:81]
	v_mul_f64 v[80:81], v[0:1], v[80:81]
	s_waitcnt vmcnt(12)
	v_mul_f64 v[121:122], v[211:212], v[58:59]
	v_mul_f64 v[123:124], v[209:210], v[58:59]
	;; [unrolled: 3-line block ×3, first 2 shown]
	ds_load_2addr_b64 v[56:59], v245 offset0:38 offset1:87
	s_waitcnt vmcnt(7)
	v_fma_f64 v[14:15], v[30:31], v[201:202], -v[112:113]
	v_fma_f64 v[203:204], v[30:31], v[203:204], v[82:83]
	v_fma_f64 v[225:226], v[28:29], v[0:1], -v[119:120]
	v_fma_f64 v[227:228], v[28:29], v[2:3], v[80:81]
	scratch_load_b128 v[28:31], off, off offset:316 ; 16-byte Folded Reload
	ds_load_2addr_b64 v[0:3], v199 offset0:174 offset1:223
	s_waitcnt lgkmcnt(2)
	v_mul_f64 v[80:81], v[195:196], v[52:53]
	v_mul_f64 v[52:53], v[193:194], v[52:53]
	s_waitcnt lgkmcnt(1)
	v_mul_f64 v[82:83], v[86:87], v[58:59]
	v_mul_f64 v[58:59], v[84:85], v[58:59]
	;; [unrolled: 3-line block ×3, first 2 shown]
	s_waitcnt vmcnt(0)
	v_fma_f64 v[185:186], v[28:29], v[4:5], -v[185:186]
	v_fma_f64 v[189:190], v[28:29], v[6:7], v[189:190]
	global_load_b128 v[4:7], v[197:198], off offset:32
	ds_load_2addr_b64 v[44:47], v12 offset0:84 offset1:133
	ds_load_2addr_b64 v[48:51], v245 offset0:136 offset1:185
	s_clause 0x1
	scratch_load_b128 v[36:39], off, off offset:284
	scratch_load_b128 v[32:35], off, off offset:268
	v_fma_f64 v[209:210], v[30:31], v[209:210], -v[121:122]
	v_fma_f64 v[211:212], v[30:31], v[211:212], v[123:124]
	v_fma_f64 v[197:198], v[216:217], v[207:208], v[221:222]
	s_clause 0x4
	scratch_load_b128 v[215:218], off, off offset:68
	scratch_load_b128 v[28:31], off, off offset:252
	;; [unrolled: 1-line block ×5, first 2 shown]
	s_waitcnt vmcnt(6)
	v_fma_f64 v[207:208], v[36:37], v[193:194], -v[80:81]
	v_fma_f64 v[12:13], v[36:37], v[195:196], v[52:53]
	s_waitcnt lgkmcnt(1)
	v_mul_f64 v[36:37], v[26:27], v[44:45]
	v_mul_f64 v[44:45], v[24:25], v[44:45]
	s_waitcnt lgkmcnt(0)
	v_mul_f64 v[52:53], v[94:95], v[50:51]
	s_waitcnt vmcnt(4)
	v_fma_f64 v[205:206], v[217:218], v[84:85], -v[82:83]
	s_waitcnt vmcnt(3)
	v_fma_f64 v[229:230], v[28:29], v[100:101], v[0:1]
	v_mul_f64 v[0:1], v[92:93], v[50:51]
	ds_load_2addr_b64 v[80:83], v244 offset0:100 offset1:149
	v_fma_f64 v[221:222], v[28:29], v[98:99], -v[119:120]
	v_fma_f64 v[195:196], v[217:218], v[86:87], v[58:59]
	v_add_f64 v[98:99], v[149:150], -v[129:130]
	v_add_f64 v[100:101], v[141:142], -v[219:220]
	s_clause 0x1
	global_load_b128 v[119:122], v[125:126], off offset:48
	global_load_b128 v[123:126], v[125:126], off offset:32
	s_waitcnt lgkmcnt(0)
	v_mul_f64 v[28:29], v[104:105], v[82:83]
	v_mul_f64 v[58:59], v[68:69], v[80:81]
	scratch_store_b64 off, v[12:13], off offset:116 ; 8-byte Folded Spill
	s_waitcnt vmcnt(4)
	v_fma_f64 v[36:37], v[110:111], v[24:25], -v[36:37]
	v_fma_f64 v[12:13], v[110:111], v[26:27], v[44:45]
	ds_load_2addr_b64 v[24:27], v250 offset0:54 offset1:103
	v_mul_f64 v[44:45], v[102:103], v[82:83]
	v_fma_f64 v[50:51], v[34:35], v[92:93], -v[52:53]
	v_fma_f64 v[34:35], v[34:35], v[94:95], v[0:1]
	v_mul_f64 v[52:53], v[78:79], v[48:49]
	v_mul_f64 v[48:49], v[76:77], v[48:49]
	s_waitcnt lgkmcnt(0)
	v_mul_f64 v[0:1], v[74:75], v[26:27]
	v_mul_f64 v[26:27], v[72:73], v[26:27]
	s_waitcnt vmcnt(2)
	v_fma_f64 v[28:29], v[42:43], v[102:103], -v[28:29]
	v_fma_f64 v[241:242], v[40:41], v[70:71], v[58:59]
	v_add_f64 v[58:59], v[139:140], v[213:214]
	v_add_f64 v[102:103], v[155:156], -v[133:134]
	v_fma_f64 v[42:43], v[42:43], v[104:105], v[44:45]
	v_add_f64 v[104:105], v[151:152], -v[171:172]
	v_fma_f64 v[193:194], v[32:33], v[76:77], -v[52:53]
	v_fma_f64 v[239:240], v[32:33], v[78:79], v[48:49]
	v_add_f64 v[48:49], v[88:89], v[131:132]
	v_add_f64 v[52:53], v[141:142], v[219:220]
	;; [unrolled: 1-line block ×3, first 2 shown]
	v_add_f64 v[12:13], v[12:13], -v[108:109]
	v_add_f64 v[76:77], v[147:148], v[127:128]
	v_add_f64 v[78:79], v[137:138], v[173:174]
	v_add_f64 v[88:89], v[88:89], -v[131:132]
	v_add_f64 v[108:109], v[157:158], -v[135:136]
	;; [unrolled: 1-line block ×3, first 2 shown]
	v_add_f64 v[141:142], v[211:212], v[177:178]
	v_fma_f64 v[44:45], v[201:202], v[72:73], -v[0:1]
	v_fma_f64 v[18:19], v[201:202], v[74:75], v[26:27]
	v_mul_f64 v[0:1], v[66:67], v[54:55]
	v_mul_f64 v[26:27], v[64:65], v[54:55]
	;; [unrolled: 1-line block ×5, first 2 shown]
	v_add_f64 v[74:75], v[149:150], v[129:130]
	v_add_f64 v[70:71], v[143:144], v[163:164]
	v_add_f64 v[129:130], v[145:146], -v[165:166]
	v_add_f64 v[149:150], v[161:162], -v[181:182]
	v_add_f64 v[80:81], v[151:152], v[171:172]
	v_add_f64 v[151:152], v[211:212], -v[177:178]
	v_add_f64 v[201:202], v[205:206], v[207:208]
	v_add_f64 v[86:87], v[48:49], v[52:53]
	;; [unrolled: 1-line block ×3, first 2 shown]
	v_fma_f64 v[233:234], v[38:39], v[64:65], -v[0:1]
	v_fma_f64 v[237:238], v[38:39], v[66:67], v[26:27]
	v_fma_f64 v[235:236], v[40:41], v[68:69], -v[54:55]
	v_add_f64 v[38:39], v[106:107], v[191:192]
	v_add_f64 v[40:41], v[36:37], v[22:23]
	v_fma_f64 v[243:244], v[30:31], v[60:61], -v[72:73]
	v_add_f64 v[60:61], v[96:97], -v[20:21]
	v_add_f64 v[20:21], v[96:97], v[20:21]
	v_add_f64 v[54:55], v[10:11], v[8:9]
	;; [unrolled: 1-line block ×5, first 2 shown]
	v_fma_f64 v[245:246], v[30:31], v[62:63], v[2:3]
	v_add_f64 v[30:31], v[106:107], -v[191:192]
	v_add_f64 v[8:9], v[10:11], -v[8:9]
	;; [unrolled: 1-line block ×7, first 2 shown]
	v_add_f64 v[137:138], v[161:162], v[181:182]
	v_add_f64 v[139:140], v[203:204], v[167:168]
	;; [unrolled: 1-line block ×4, first 2 shown]
	v_add_f64 v[153:154], v[203:204], -v[167:168]
	v_add_f64 v[155:156], v[50:51], -v[169:170]
	v_add_f64 v[86:87], v[74:75], v[86:87]
	v_add_f64 v[167:168], v[50:51], v[169:170]
	;; [unrolled: 1-line block ×3, first 2 shown]
	v_add_f64 v[36:37], v[36:37], -v[22:23]
	v_add_f64 v[22:23], v[90:91], v[223:224]
	v_add_f64 v[72:73], v[90:91], -v[223:224]
	v_add_f64 v[133:134], v[209:210], -v[175:176]
	;; [unrolled: 1-line block ×3, first 2 shown]
	v_add_f64 v[147:148], v[209:210], v[175:176]
	v_add_f64 v[157:158], v[185:186], -v[44:45]
	v_add_f64 v[161:162], v[34:35], v[183:184]
	v_add_f64 v[163:164], v[227:228], v[42:43]
	;; [unrolled: 1-line block ×3, first 2 shown]
	v_add_f64 v[173:174], v[34:35], -v[183:184]
	v_add_f64 v[18:19], v[189:190], -v[18:19]
	;; [unrolled: 1-line block ×3, first 2 shown]
	v_add_f64 v[84:85], v[38:39], v[40:41]
	v_add_f64 v[185:186], v[98:99], v[100:101]
	ds_load_2addr_b64 v[0:3], v255 offset0:196 offset1:245
	v_add_f64 v[179:180], v[38:39], -v[20:21]
	v_add_f64 v[181:182], v[20:21], -v[40:41]
	;; [unrolled: 1-line block ×6, first 2 shown]
	scratch_load_b128 v[50:53], off, off offset:220 ; 16-byte Folded Reload
	v_add_f64 v[90:91], v[54:55], v[58:59]
	v_add_f64 v[92:93], v[64:65], v[66:67]
	;; [unrolled: 1-line block ×4, first 2 shown]
	v_add_f64 v[187:188], v[54:55], -v[76:77]
	v_add_f64 v[189:190], v[104:105], v[106:107]
	v_add_f64 v[54:55], v[58:59], -v[54:55]
	v_add_f64 v[191:192], v[64:65], -v[78:79]
	;; [unrolled: 1-line block ×3, first 2 shown]
	v_add_f64 v[197:198], v[137:138], v[139:140]
	v_add_f64 v[159:160], v[225:226], -v[28:29]
	v_add_f64 v[169:170], v[225:226], v[28:29]
	s_waitcnt lgkmcnt(0)
	v_add_f64 v[28:29], v[2:3], v[86:87]
	v_add_f64 v[2:3], v[80:81], -v[70:71]
	v_add_f64 v[82:83], v[26:27], v[32:33]
	v_add_f64 v[34:35], v[60:61], v[36:37]
	v_add_f64 v[42:43], v[26:27], -v[22:23]
	v_add_f64 v[44:45], v[72:73], v[12:13]
	v_add_f64 v[177:178], v[22:23], -v[32:33]
	v_add_f64 v[32:33], v[32:33], -v[26:27]
	v_mul_f64 v[203:204], v[6:7], v[46:47]
	v_mul_f64 v[209:210], v[4:5], v[46:47]
	v_add_f64 v[84:85], v[20:21], v[84:85]
	v_mul_f64 v[181:182], v[181:182], s[22:23]
	v_mul_f64 v[74:75], v[74:75], s[22:23]
	v_add_f64 v[90:91], v[76:77], v[90:91]
	v_add_f64 v[92:93], v[78:79], v[92:93]
	v_add_f64 v[76:77], v[76:77], -v[58:59]
	v_add_f64 v[58:59], v[127:128], v[129:130]
	v_add_f64 v[78:79], v[78:79], -v[66:67]
	v_add_f64 v[66:67], v[133:134], v[135:136]
	v_add_f64 v[94:95], v[80:81], v[94:95]
	v_mul_f64 v[2:3], v[2:3], s[22:23]
	v_add_f64 v[82:83], v[22:23], v[82:83]
	v_add_f64 v[44:45], v[62:63], v[44:45]
	v_mul_f64 v[177:178], v[177:178], s[22:23]
	v_fma_f64 v[4:5], v[112:113], v[4:5], -v[203:204]
	v_fma_f64 v[6:7], v[112:113], v[6:7], v[209:210]
	v_add_f64 v[209:210], v[161:162], -v[165:166]
	v_add_f64 v[20:21], v[215:216], v[84:85]
	v_mul_f64 v[76:77], v[76:77], s[22:23]
	v_add_f64 v[58:59], v[108:109], v[58:59]
	v_mul_f64 v[78:79], v[78:79], s[22:23]
	v_add_f64 v[22:23], v[56:57], v[82:83]
	v_add_f64 v[56:57], v[143:144], v[145:146]
	s_waitcnt vmcnt(1)
	v_mul_f64 v[110:111], v[125:126], v[24:25]
	v_mul_f64 v[24:25], v[123:124], v[24:25]
	s_delay_alu instid0(VALU_DEP_2) | instskip(NEXT) | instid1(VALU_DEP_2)
	v_fma_f64 v[123:124], v[199:200], v[123:124], -v[110:111]
	v_fma_f64 v[24:25], v[199:200], v[125:126], v[24:25]
	v_add_f64 v[125:126], v[157:158], -v[159:160]
	s_delay_alu instid0(VALU_DEP_1)
	v_mul_f64 v[125:126], v[125:126], s[18:19]
	s_waitcnt vmcnt(0)
	v_add_f64 v[26:27], v[52:53], v[90:91]
	v_add_f64 v[52:53], v[0:1], v[92:93]
	v_add_f64 v[0:1], v[68:69], -v[80:81]
	v_add_f64 v[68:69], v[70:71], -v[68:69]
	;; [unrolled: 1-line block ×5, first 2 shown]
	v_add_f64 v[30:31], v[30:31], v[34:35]
	v_add_f64 v[34:35], v[62:63], -v[72:73]
	v_add_f64 v[72:73], v[72:73], -v[12:13]
	;; [unrolled: 1-line block ×6, first 2 shown]
	v_add_f64 v[8:9], v[8:9], v[183:184]
	v_add_f64 v[96:97], v[88:89], -v[98:99]
	v_add_f64 v[98:99], v[98:99], -v[100:101]
	v_add_f64 v[100:101], v[100:101], -v[88:89]
	v_add_f64 v[88:89], v[88:89], v[185:186]
	v_add_f64 v[183:184], v[102:103], -v[104:105]
	v_add_f64 v[104:105], v[104:105], -v[106:107]
	v_add_f64 v[106:107], v[106:107], -v[102:103]
	;; [unrolled: 4-line block ×3, first 2 shown]
	v_add_f64 v[189:190], v[131:132], -v[133:134]
	v_add_f64 v[108:109], v[133:134], -v[135:136]
	v_add_f64 v[133:134], v[135:136], -v[131:132]
	v_add_f64 v[131:132], v[131:132], v[66:67]
	v_add_f64 v[135:136], v[137:138], -v[141:142]
	v_add_f64 v[137:138], v[139:140], -v[137:138]
	v_add_f64 v[66:67], v[141:142], -v[139:140]
	v_add_f64 v[139:140], v[141:142], v[197:198]
	;; [unrolled: 4-line block ×3, first 2 shown]
	v_mul_f64 v[56:57], v[42:43], s[10:11]
	v_fma_f64 v[42:43], v[42:43], s[10:11], v[177:178]
	v_fma_f64 v[197:198], v[0:1], s[10:11], v[2:3]
	v_add_f64 v[50:51], v[50:51], v[94:95]
	v_mul_f64 v[60:61], v[60:61], s[18:19]
	v_mul_f64 v[72:73], v[72:73], s[18:19]
	;; [unrolled: 1-line block ×9, first 2 shown]
	v_fma_f64 v[56:57], v[32:33], s[16:17], -v[56:57]
	v_fma_f64 v[32:33], v[32:33], s[12:13], -v[177:178]
	v_mul_f64 v[177:178], v[36:37], s[6:7]
	v_fma_f64 v[36:37], v[36:37], s[6:7], -v[60:61]
	s_delay_alu instid0(VALU_DEP_2)
	v_fma_f64 v[177:178], v[70:71], s[14:15], -v[177:178]
	v_fma_f64 v[70:71], v[70:71], s[2:3], v[60:61]
	v_mul_f64 v[60:61], v[179:180], s[10:11]
	v_fma_f64 v[179:180], v[179:180], s[10:11], v[181:182]
	v_fma_f64 v[36:37], v[30:31], s[0:1], v[36:37]
	v_fma_f64 v[177:178], v[30:31], s[0:1], v[177:178]
	v_fma_f64 v[70:71], v[30:31], s[0:1], v[70:71]
	v_fma_f64 v[60:61], v[38:39], s[16:17], -v[60:61]
	v_fma_f64 v[38:39], v[38:39], s[12:13], -v[181:182]
	v_mul_f64 v[181:182], v[12:13], s[6:7]
	v_fma_f64 v[12:13], v[12:13], s[6:7], -v[72:73]
	v_fma_f64 v[30:31], v[84:85], s[20:21], v[20:21]
	v_fma_f64 v[84:85], v[94:95], s[20:21], v[50:51]
	s_delay_alu instid0(VALU_DEP_4)
	v_fma_f64 v[181:182], v[34:35], s[14:15], -v[181:182]
	v_fma_f64 v[34:35], v[34:35], s[2:3], v[72:73]
	v_mul_f64 v[72:73], v[40:41], s[10:11]
	v_fma_f64 v[40:41], v[40:41], s[10:11], v[74:75]
	v_fma_f64 v[12:13], v[44:45], s[0:1], v[12:13]
	v_add_f64 v[60:61], v[60:61], v[30:31]
	v_add_f64 v[197:198], v[197:198], v[84:85]
	;; [unrolled: 1-line block ×3, first 2 shown]
	v_add_f64 v[179:180], v[149:150], -v[151:152]
	v_add_f64 v[38:39], v[38:39], v[30:31]
	v_fma_f64 v[181:182], v[44:45], s[0:1], v[181:182]
	v_fma_f64 v[72:73], v[48:49], s[16:17], -v[72:73]
	v_fma_f64 v[48:49], v[48:49], s[12:13], -v[74:75]
	v_mul_f64 v[74:75], v[80:81], s[6:7]
	v_add_f64 v[30:31], v[12:13], v[38:39]
	v_add_f64 v[38:39], v[38:39], -v[12:13]
	s_delay_alu instid0(VALU_DEP_3)
	v_fma_f64 v[74:75], v[62:63], s[14:15], -v[74:75]
	v_fma_f64 v[62:63], v[62:63], s[2:3], v[10:11]
	v_fma_f64 v[10:11], v[80:81], s[6:7], -v[10:11]
	v_mul_f64 v[80:81], v[187:188], s[10:11]
	v_fma_f64 v[187:188], v[187:188], s[10:11], v[76:77]
	v_fma_f64 v[74:75], v[8:9], s[0:1], v[74:75]
	s_delay_alu instid0(VALU_DEP_3) | instskip(SKIP_2) | instid1(VALU_DEP_1)
	v_fma_f64 v[80:81], v[54:55], s[16:17], -v[80:81]
	v_fma_f64 v[54:55], v[54:55], s[12:13], -v[76:77]
	v_mul_f64 v[76:77], v[100:101], s[6:7]
	v_fma_f64 v[76:77], v[96:97], s[14:15], -v[76:77]
	v_fma_f64 v[96:97], v[96:97], s[2:3], v[98:99]
	v_fma_f64 v[98:99], v[100:101], s[6:7], -v[98:99]
	v_mul_f64 v[100:101], v[191:192], s[10:11]
	v_fma_f64 v[191:192], v[191:192], s[10:11], v[78:79]
	s_delay_alu instid0(VALU_DEP_2) | instskip(SKIP_2) | instid1(VALU_DEP_1)
	v_fma_f64 v[100:101], v[64:65], s[16:17], -v[100:101]
	v_fma_f64 v[64:65], v[64:65], s[12:13], -v[78:79]
	v_mul_f64 v[78:79], v[106:107], s[6:7]
	v_fma_f64 v[78:79], v[183:184], s[14:15], -v[78:79]
	v_fma_f64 v[183:184], v[183:184], s[2:3], v[104:105]
	v_fma_f64 v[104:105], v[106:107], s[6:7], -v[104:105]
	v_mul_f64 v[106:107], v[0:1], s[10:11]
	s_delay_alu instid0(VALU_DEP_4) | instskip(NEXT) | instid1(VALU_DEP_4)
	v_fma_f64 v[217:218], v[102:103], s[0:1], v[78:79]
	v_fma_f64 v[183:184], v[102:103], s[0:1], v[183:184]
	s_delay_alu instid0(VALU_DEP_4) | instskip(NEXT) | instid1(VALU_DEP_4)
	v_fma_f64 v[251:252], v[102:103], s[0:1], v[104:105]
	v_fma_f64 v[106:107], v[68:69], s[16:17], -v[106:107]
	v_fma_f64 v[68:69], v[68:69], s[12:13], -v[2:3]
	ds_load_2addr_b64 v[0:3], v16 offset0:92 offset1:141
	v_mul_f64 v[16:17], v[133:134], s[6:7]
	v_fma_f64 v[133:134], v[133:134], s[6:7], -v[225:226]
	s_waitcnt lgkmcnt(0)
	v_mul_f64 v[211:212], v[121:122], v[2:3]
	v_mul_f64 v[213:214], v[119:120], v[2:3]
	;; [unrolled: 1-line block ×6, first 2 shown]
	v_add_f64 v[106:107], v[106:107], v[84:85]
	v_add_f64 v[215:216], v[68:69], v[84:85]
	v_fma_f64 v[16:17], v[189:190], s[14:15], -v[16:17]
	v_fma_f64 v[127:128], v[185:186], s[2:3], v[0:1]
	v_fma_f64 v[46:47], v[185:186], s[14:15], -v[2:3]
	v_fma_f64 v[129:130], v[129:130], s[6:7], -v[0:1]
	v_fma_f64 v[185:186], v[44:45], s[0:1], v[34:35]
	v_fma_f64 v[0:1], v[82:83], s[20:21], v[22:23]
	;; [unrolled: 1-line block ×10, first 2 shown]
	v_add_f64 v[10:11], v[151:152], -v[153:154]
	v_add_f64 v[151:152], v[151:152], v[153:154]
	v_add_f64 v[153:154], v[153:154], -v[149:150]
	v_fma_f64 v[127:128], v[58:59], s[0:1], v[127:128]
	v_fma_f64 v[14:15], v[58:59], s[0:1], v[46:47]
	v_fma_f64 v[129:130], v[58:59], s[0:1], v[129:130]
	v_add_f64 v[46:47], v[181:182], v[60:61]
	v_add_f64 v[62:63], v[32:33], v[0:1]
	;; [unrolled: 1-line block ×10, first 2 shown]
	scratch_load_b128 v[82:85], off, off offset:236 ; 16-byte Folded Reload
	v_add_f64 v[108:109], v[40:41], v[34:35]
	v_add_f64 v[227:228], v[72:73], v[34:35]
	;; [unrolled: 1-line block ×3, first 2 shown]
	v_add_f64 v[34:35], v[60:61], -v[181:182]
	ds_load_2addr_b64 v[0:3], v255 offset0:98 offset1:147
	v_mul_f64 v[10:11], v[10:11], s[18:19]
	v_add_f64 v[42:43], v[94:95], -v[185:186]
	v_add_f64 v[54:55], v[185:186], v[94:95]
	v_add_f64 v[12:13], v[149:150], v[151:152]
	v_add_f64 v[149:150], v[161:162], v[163:164]
	v_add_f64 v[151:152], v[165:166], -v[163:164]
	v_add_f64 v[181:182], v[171:172], -v[169:170]
	v_add_f64 v[185:186], v[245:246], v[241:242]
	v_add_f64 v[161:162], v[163:164], -v[161:162]
	v_add_f64 v[163:164], v[205:206], -v[207:208]
	s_waitcnt lgkmcnt(0)
	v_add_f64 v[104:105], v[2:3], v[139:140]
	v_mul_f64 v[2:3], v[141:142], s[10:11]
	v_add_f64 v[94:95], v[215:216], -v[129:130]
	v_add_f64 v[32:33], v[62:63], -v[36:37]
	v_add_f64 v[40:41], v[36:37], v[62:63]
	v_add_f64 v[36:37], v[177:178], v[56:57]
	v_add_f64 v[48:49], v[56:57], -v[177:178]
	v_add_f64 v[44:45], v[70:71], v[88:89]
	v_add_f64 v[56:57], v[88:89], -v[70:71]
	v_add_f64 v[60:61], v[96:97], -v[8:9]
	v_add_f64 v[58:59], v[76:77], v[98:99]
	v_add_f64 v[72:73], v[8:9], v[96:97]
	v_add_f64 v[70:71], v[98:99], -v[76:77]
	v_add_f64 v[66:67], v[187:188], -v[90:91]
	v_add_f64 v[78:79], v[90:91], v[187:188]
	v_add_f64 v[88:89], v[253:254], -v[251:252]
	v_add_f64 v[96:97], v[251:252], v[253:254]
	;; [unrolled: 2-line block ×4, first 2 shown]
	scratch_load_b128 v[197:200], off, off offset:20 ; 16-byte Folded Reload
	v_add_f64 v[64:65], v[74:75], v[227:228]
	v_add_f64 v[62:63], v[80:81], -v[92:93]
	v_add_f64 v[76:77], v[227:228], -v[74:75]
	v_add_f64 v[74:75], v[92:93], v[80:81]
	v_add_f64 v[68:69], v[86:87], v[108:109]
	v_add_f64 v[80:81], v[108:109], -v[86:87]
	v_add_f64 v[86:87], v[129:130], v[215:216]
	v_fma_f64 v[8:9], v[189:190], s[2:3], v[225:226]
	v_mul_f64 v[14:15], v[153:154], s[6:7]
	v_add_f64 v[177:178], v[167:168], v[169:170]
	v_add_f64 v[253:254], v[183:184], v[191:192]
	v_add_f64 v[108:109], v[191:192], -v[183:184]
	v_fma_f64 v[127:128], v[135:136], s[10:11], v[249:250]
	v_fma_f64 v[135:136], v[141:142], s[10:11], v[145:146]
	v_fma_f64 v[141:142], v[179:180], s[2:3], v[10:11]
	v_fma_f64 v[129:130], v[139:140], s[20:21], v[104:105]
	v_add_f64 v[183:184], v[239:240], v[237:238]
	v_fma_f64 v[10:11], v[153:154], s[6:7], -v[10:11]
	v_add_f64 v[153:154], v[157:158], v[159:160]
	v_add_f64 v[92:93], v[217:218], v[100:101]
	v_add_f64 v[100:101], v[100:101], -v[217:218]
	v_add_f64 v[187:188], v[193:194], v[233:234]
	v_fma_f64 v[2:3], v[143:144], s[16:17], -v[2:3]
	v_add_f64 v[149:150], v[165:166], v[149:150]
	v_mul_f64 v[151:152], v[151:152], s[22:23]
	v_mul_f64 v[165:166], v[181:182], s[22:23]
	v_add_f64 v[181:182], v[193:194], -v[233:234]
	v_mul_f64 v[233:234], v[209:210], s[10:11]
	v_add_f64 v[189:190], v[243:244], v[235:236]
	v_fma_f64 v[191:192], v[131:132], s[0:1], v[8:9]
	v_fma_f64 v[8:9], v[179:180], s[14:15], -v[14:15]
	v_add_f64 v[14:15], v[18:19], -v[175:176]
	v_fma_f64 v[141:142], v[12:13], s[0:1], v[141:142]
	v_add_f64 v[215:216], v[127:128], v[129:130]
	v_fma_f64 v[127:128], v[143:144], s[12:13], -v[145:146]
	v_fma_f64 v[145:146], v[131:132], s[0:1], v[16:17]
	v_add_f64 v[16:17], v[155:156], -v[157:158]
	v_add_f64 v[217:218], v[183:184], v[185:186]
	v_fma_f64 v[131:132], v[131:132], s[0:1], v[133:134]
	v_fma_f64 v[133:134], v[12:13], s[0:1], v[10:11]
	v_add_f64 v[153:154], v[155:156], v[153:154]
	v_add_f64 v[143:144], v[175:176], -v[173:174]
	v_fma_f64 v[207:208], v[209:210], s[10:11], v[151:152]
	v_fma_f64 v[151:152], v[161:162], s[12:13], -v[151:152]
	v_fma_f64 v[233:234], v[161:162], s[16:17], -v[233:234]
	v_mul_f64 v[14:15], v[14:15], s[18:19]
	v_mul_f64 v[193:194], v[143:144], s[6:7]
	s_delay_alu instid0(VALU_DEP_2)
	v_fma_f64 v[143:144], v[143:144], s[6:7], -v[14:15]
	s_waitcnt vmcnt(1)
	v_add_f64 v[102:103], v[84:85], v[147:148]
	scratch_load_b64 v[84:85], off, off offset:108 ; 8-byte Folded Reload
	v_fma_f64 v[139:140], v[147:148], s[20:21], v[102:103]
	v_fma_f64 v[147:148], v[137:138], s[16:17], -v[247:248]
	scratch_load_b64 v[247:248], off, off offset:116 ; 8-byte Folded Reload
	v_fma_f64 v[137:138], v[137:138], s[12:13], -v[249:250]
	s_waitcnt vmcnt(2)
	v_fma_f64 v[119:120], v[199:200], v[119:120], -v[211:212]
	v_fma_f64 v[110:111], v[197:198], v[114:115], -v[219:220]
	scratch_load_b64 v[114:115], off, off offset:100 ; 8-byte Folded Reload
	v_fma_f64 v[121:122], v[199:200], v[121:122], v[213:214]
	v_add_f64 v[211:212], v[167:168], -v[171:172]
	v_add_f64 v[213:214], v[159:160], -v[155:156]
	v_add_f64 v[159:160], v[171:172], v[177:178]
	v_add_f64 v[177:178], v[243:244], -v[235:236]
	v_add_f64 v[167:168], v[169:170], -v[167:168]
	v_fma_f64 v[169:170], v[12:13], s[0:1], v[8:9]
	v_fma_f64 v[112:113], v[197:198], v[116:117], v[223:224]
	v_add_f64 v[219:220], v[187:188], v[189:190]
	v_add_f64 v[223:224], v[239:240], -v[237:238]
	v_add_f64 v[135:136], v[135:136], v[139:140]
	v_add_f64 v[199:200], v[2:3], v[139:140]
	;; [unrolled: 1-line block ×5, first 2 shown]
	v_fma_f64 v[137:138], v[16:17], s[2:3], v[125:126]
	v_add_f64 v[2:3], v[0:1], v[149:150]
	v_add_f64 v[171:172], v[119:120], -v[123:124]
	v_add_f64 v[119:120], v[119:120], v[123:124]
	v_add_f64 v[123:124], v[173:174], -v[18:19]
	v_add_f64 v[157:158], v[121:122], v[24:25]
	v_mul_f64 v[235:236], v[211:212], s[10:11]
	v_fma_f64 v[211:212], v[211:212], s[10:11], v[165:166]
	v_add_f64 v[24:25], v[121:122], -v[24:25]
	v_add_f64 v[121:122], v[245:246], -v[241:242]
	v_fma_f64 v[161:162], v[167:168], s[12:13], -v[165:166]
	v_add_f64 v[18:19], v[18:19], v[175:176]
	v_add_f64 v[175:176], v[110:111], -v[4:5]
	v_add_f64 v[225:226], v[112:113], v[6:7]
	v_add_f64 v[110:111], v[110:111], v[4:5]
	v_mul_f64 v[237:238], v[213:214], s[6:7]
	v_add_f64 v[112:113], v[112:113], -v[6:7]
	v_add_f64 v[0:1], v[82:83], v[159:160]
	ds_load_2addr_b64 v[4:7], v255 offset1:49
	v_fma_f64 v[125:126], v[213:214], s[6:7], -v[125:126]
	v_fma_f64 v[149:150], v[149:150], s[20:21], v[2:3]
	v_add_f64 v[10:11], v[171:172], -v[177:178]
	v_add_f64 v[12:13], v[171:172], v[177:178]
	v_add_f64 v[165:166], v[181:182], -v[171:172]
	v_add_f64 v[139:140], v[183:184], -v[157:158]
	;; [unrolled: 1-line block ×3, first 2 shown]
	v_add_f64 v[155:156], v[157:158], v[217:218]
	v_add_f64 v[157:158], v[177:178], -v[181:182]
	v_add_f64 v[171:172], v[185:186], -v[183:184]
	v_add_f64 v[177:178], v[119:120], v[219:220]
	v_add_f64 v[205:206], v[119:120], -v[189:190]
	v_add_f64 v[209:210], v[24:25], -v[121:122]
	;; [unrolled: 1-line block ×4, first 2 shown]
	v_fma_f64 v[219:220], v[123:124], s[2:3], v[14:15]
	v_add_f64 v[239:240], v[201:202], -v[110:111]
	v_fma_f64 v[237:238], v[16:17], s[14:15], -v[237:238]
	v_fma_f64 v[123:124], v[123:124], s[14:15], -v[193:194]
	v_add_f64 v[18:19], v[173:174], v[18:19]
	v_fma_f64 v[235:236], v[167:168], s[16:17], -v[235:236]
	v_add_f64 v[121:122], v[24:25], v[121:122]
	v_add_f64 v[24:25], v[223:224], -v[24:25]
	v_add_f64 v[187:188], v[189:190], -v[187:188]
	v_fma_f64 v[159:160], v[159:160], s[20:21], v[0:1]
	v_add_f64 v[207:208], v[207:208], v[149:150]
	v_mul_f64 v[183:184], v[10:11], s[18:19]
	v_add_f64 v[181:182], v[181:182], v[12:13]
	scratch_load_b128 v[10:13], off, off offset:84 ; 16-byte Folded Reload
	v_mul_f64 v[14:15], v[139:140], s[10:11]
	v_mul_f64 v[167:168], v[8:9], s[22:23]
	s_waitcnt lgkmcnt(0)
	v_add_f64 v[8:9], v[6:7], v[155:156]
	v_mul_f64 v[185:186], v[157:158], s[6:7]
	v_mul_f64 v[205:206], v[205:206], s[22:23]
	;; [unrolled: 1-line block ×6, first 2 shown]
	v_add_f64 v[121:122], v[223:224], v[121:122]
	v_add_f64 v[211:212], v[211:212], v[159:160]
	v_fma_f64 v[157:158], v[157:158], s[6:7], -v[183:184]
	v_fma_f64 v[223:224], v[171:172], s[16:17], -v[14:15]
	v_fma_f64 v[139:140], v[139:140], s[10:11], v[167:168]
	v_fma_f64 v[167:168], v[171:172], s[12:13], -v[167:168]
	v_fma_f64 v[171:172], v[165:166], s[14:15], -v[185:186]
	v_fma_f64 v[165:166], v[165:166], s[2:3], v[183:184]
	v_fma_f64 v[155:156], v[155:156], s[20:21], v[8:9]
	;; [unrolled: 1-line block ×3, first 2 shown]
	v_fma_f64 v[183:184], v[187:188], s[12:13], -v[205:206]
	v_fma_f64 v[185:186], v[24:25], s[14:15], -v[213:214]
	v_fma_f64 v[24:25], v[24:25], s[2:3], v[209:210]
	v_fma_f64 v[189:190], v[187:188], s[16:17], -v[189:190]
	v_fma_f64 v[187:188], v[217:218], s[6:7], -v[209:210]
	v_add_f64 v[14:15], v[135:136], -v[141:142]
	v_fma_f64 v[171:172], v[181:182], s[0:1], v[171:172]
	v_add_f64 v[223:224], v[223:224], v[155:156]
	v_add_f64 v[167:168], v[167:168], v[155:156]
	v_fma_f64 v[185:186], v[121:122], s[0:1], v[185:186]
	v_fma_f64 v[24:25], v[121:122], s[0:1], v[24:25]
	s_waitcnt vmcnt(3)
	v_add_f64 v[197:198], v[229:230], v[84:85]
	s_waitcnt vmcnt(2)
	v_add_f64 v[179:180], v[195:196], v[247:248]
	v_add_f64 v[195:196], v[195:196], -v[247:248]
	s_waitcnt vmcnt(1)
	v_add_f64 v[203:204], v[221:222], v[114:115]
	v_add_f64 v[117:118], v[221:222], -v[114:115]
	v_add_f64 v[115:116], v[229:230], -v[84:85]
	v_add_f64 v[221:222], v[179:180], v[197:198]
	v_add_f64 v[229:230], v[179:180], -v[225:226]
	v_add_f64 v[179:180], v[197:198], -v[179:180]
	;; [unrolled: 3-line block ×4, first 2 shown]
	v_add_f64 v[241:242], v[117:118], -v[163:164]
	v_add_f64 v[243:244], v[175:176], v[117:118]
	v_add_f64 v[117:118], v[145:146], v[147:148]
	v_add_f64 v[175:176], v[163:164], -v[175:176]
	v_add_f64 v[221:222], v[225:226], v[221:222]
	v_add_f64 v[225:226], v[225:226], -v[197:198]
	;; [unrolled: 2-line block ×3, first 2 shown]
	v_add_f64 v[112:113], v[195:196], -v[112:113]
	v_mul_f64 v[203:204], v[193:194], s[6:7]
	v_mul_f64 v[249:250], v[16:17], s[22:23]
	;; [unrolled: 1-line block ×4, first 2 shown]
	v_add_f64 v[163:164], v[163:164], v[243:244]
	v_add_f64 v[195:196], v[195:196], v[247:248]
	v_add_f64 v[115:116], v[199:200], -v[169:170]
	v_add_f64 v[16:17], v[191:192], v[215:216]
	v_mul_f64 v[225:226], v[225:226], s[22:23]
	s_waitcnt vmcnt(0)
	v_add_f64 v[6:7], v[12:13], v[177:178]
	v_add_f64 v[12:13], v[4:5], v[221:222]
	v_mul_f64 v[4:5], v[229:230], s[10:11]
	v_mul_f64 v[110:111], v[110:111], s[18:19]
	v_fma_f64 v[203:204], v[112:113], s[14:15], -v[203:204]
	v_add_f64 v[10:11], v[10:11], v[227:228]
	v_fma_f64 v[205:206], v[175:176], s[2:3], v[173:174]
	v_fma_f64 v[175:176], v[175:176], s[14:15], -v[197:198]
	v_fma_f64 v[197:198], v[201:202], s[16:17], -v[245:246]
	;; [unrolled: 1-line block ×4, first 2 shown]
	v_fma_f64 v[213:214], v[229:230], s[10:11], v[225:226]
	v_fma_f64 v[229:230], v[18:19], s[0:1], v[123:124]
	v_add_f64 v[123:124], v[127:128], -v[133:134]
	v_fma_f64 v[177:178], v[177:178], s[20:21], v[6:7]
	v_fma_f64 v[209:210], v[221:222], s[20:21], v[12:13]
	v_fma_f64 v[4:5], v[179:180], s[16:17], -v[4:5]
	v_fma_f64 v[179:180], v[179:180], s[12:13], -v[225:226]
	;; [unrolled: 1-line block ×3, first 2 shown]
	v_fma_f64 v[221:222], v[153:154], s[0:1], v[137:138]
	v_fma_f64 v[110:111], v[112:113], s[2:3], v[110:111]
	;; [unrolled: 1-line block ×4, first 2 shown]
	v_add_f64 v[225:226], v[233:234], v[149:150]
	v_add_f64 v[149:150], v[151:152], v[149:150]
	v_fma_f64 v[151:152], v[153:154], s[0:1], v[125:126]
	v_add_f64 v[153:154], v[161:162], v[159:160]
	v_fma_f64 v[18:19], v[18:19], s[0:1], v[143:144]
	;; [unrolled: 2-line block ×3, first 2 shown]
	v_fma_f64 v[137:138], v[239:240], s[10:11], v[249:250]
	v_add_f64 v[227:228], v[235:236], v[159:160]
	v_add_f64 v[161:162], v[171:172], v[223:224]
	v_fma_f64 v[233:234], v[181:182], s[0:1], v[165:166]
	v_fma_f64 v[181:182], v[181:182], s[0:1], v[157:158]
	;; [unrolled: 1-line block ×3, first 2 shown]
	v_add_f64 v[235:236], v[139:140], v[155:156]
	v_add_f64 v[237:238], v[119:120], v[177:178]
	v_add_f64 v[189:190], v[189:190], v[177:178]
	v_add_f64 v[177:178], v[183:184], v[177:178]
	v_fma_f64 v[183:184], v[121:122], s[0:1], v[187:188]
	v_add_f64 v[121:122], v[129:130], -v[131:132]
	v_add_f64 v[129:130], v[147:148], -v[145:146]
	v_fma_f64 v[187:188], v[163:164], s[0:1], v[205:206]
	v_add_f64 v[205:206], v[213:214], v[209:210]
	v_fma_f64 v[213:214], v[163:164], s[0:1], v[175:176]
	v_add_f64 v[4:5], v[4:5], v[209:210]
	v_add_f64 v[179:180], v[179:180], v[209:210]
	v_fma_f64 v[241:242], v[195:196], s[0:1], v[193:194]
	v_fma_f64 v[243:244], v[195:196], s[0:1], v[110:111]
	v_add_f64 v[143:144], v[18:19], v[153:154]
	v_add_f64 v[147:148], v[153:154], -v[18:19]
	scratch_load_b64 v[18:19], off, off offset:212 ; 8-byte Folded Reload
	v_add_f64 v[239:240], v[197:198], v[217:218]
	v_fma_f64 v[197:198], v[163:164], s[0:1], v[173:174]
	s_waitcnt vmcnt(0)
	v_mov_b32_e32 v19, v232
	v_add_f64 v[173:174], v[223:224], -v[171:172]
	v_add_f64 v[209:210], v[201:202], v[217:218]
	v_add_f64 v[217:218], v[137:138], v[217:218]
	;; [unrolled: 1-line block ×4, first 2 shown]
	v_add_f64 v[165:166], v[167:168], -v[181:182]
	v_add_f64 v[169:170], v[181:182], v[167:168]
	v_add_f64 v[133:134], v[215:216], -v[191:192]
	v_add_f64 v[131:132], v[141:142], v[135:136]
	;; [unrolled: 2-line block ×3, first 2 shown]
	v_add_f64 v[137:138], v[221:222], v[207:208]
	v_add_f64 v[157:158], v[207:208], -v[221:222]
	v_add_f64 v[112:113], v[233:234], v[235:236]
	v_add_f64 v[141:142], v[219:220], v[225:226]
	v_add_f64 v[139:140], v[227:228], -v[229:230]
	v_add_f64 v[145:146], v[149:150], -v[151:152]
	v_add_f64 v[149:150], v[151:152], v[149:150]
	v_add_f64 v[153:154], v[225:226], -v[219:220]
	v_add_f64 v[175:176], v[24:25], v[237:238]
	;; [unrolled: 2-line block ×3, first 2 shown]
	v_add_f64 v[163:164], v[183:184], v[177:178]
	v_add_f64 v[167:168], v[177:178], -v[183:184]
	v_add_f64 v[177:178], v[235:236], -v[233:234]
	;; [unrolled: 1-line block ×3, first 2 shown]
	v_add_f64 v[181:182], v[187:188], v[205:206]
	v_add_f64 v[151:152], v[229:230], v[227:228]
	;; [unrolled: 1-line block ×3, first 2 shown]
	v_add_f64 v[183:184], v[239:240], -v[203:204]
	v_add_f64 v[189:190], v[179:180], -v[197:198]
	v_add_f64 v[193:194], v[197:198], v[179:180]
	v_add_f64 v[197:198], v[4:5], -v[213:214]
	v_add_f64 v[195:196], v[203:204], v[239:240]
	;; [unrolled: 2-line block ×4, first 2 shown]
	v_add_f64 v[179:180], v[217:218], -v[243:244]
	v_lshlrev_b64 v[4:5], 4, v[18:19]
	scratch_load_b64 v[18:19], off, off offset:8 ; 8-byte Folded Reload
	s_waitcnt vmcnt(0)
	v_add_co_u32 v201, vcc_lo, s8, v18
	v_add_co_ci_u32_e32 v212, vcc_lo, s9, v19, vcc_lo
	s_delay_alu instid0(VALU_DEP_2) | instskip(NEXT) | instid1(VALU_DEP_2)
	v_add_co_u32 v4, vcc_lo, v201, v4
	v_add_co_ci_u32_e32 v5, vcc_lo, v212, v5, vcc_lo
	s_delay_alu instid0(VALU_DEP_2) | instskip(NEXT) | instid1(VALU_DEP_2)
	v_add_co_u32 v18, vcc_lo, 0x1000, v4
	v_add_co_ci_u32_e32 v19, vcc_lo, 0, v5, vcc_lo
	v_add_co_u32 v24, vcc_lo, 0x2000, v4
	v_add_co_ci_u32_e32 v25, vcc_lo, 0, v5, vcc_lo
	;; [unrolled: 2-line block ×4, first 2 shown]
	s_clause 0x9
	global_store_b128 v[4:5], v[10:13], off
	global_store_b128 v[4:5], v[6:9], off offset:784
	global_store_b128 v[18:19], v[202:205], off offset:1392
	;; [unrolled: 1-line block ×9, first 2 shown]
	scratch_load_b32 v6, off, off offset:4  ; 4-byte Folded Reload
	v_add_co_u32 v208, vcc_lo, 0x6000, v4
	v_add_co_ci_u32_e32 v209, vcc_lo, 0, v5, vcc_lo
	v_add_co_u32 v210, vcc_lo, 0x8000, v4
	v_add_co_ci_u32_e32 v211, vcc_lo, 0, v5, vcc_lo
	s_clause 0x7
	global_store_b128 v[208:209], v[183:186], off offset:2864
	global_store_b128 v[208:209], v[159:162], off offset:3648
	;; [unrolled: 1-line block ×8, first 2 shown]
	s_waitcnt vmcnt(0)
	v_mul_hi_u32 v8, 0xbf112a8b, v6
	v_add_co_u32 v6, vcc_lo, 0x3000, v4
	v_add_co_ci_u32_e32 v7, vcc_lo, 0, v5, vcc_lo
	s_clause 0x3
	global_store_b128 v[6:7], v[151:154], off offset:256
	global_store_b128 v[6:7], v[127:130], off offset:1040
	;; [unrolled: 1-line block ×4, first 2 shown]
	v_lshrrev_b32_e32 v10, 8, v8
	v_add_co_u32 v8, vcc_lo, 0x7000, v4
	v_add_co_ci_u32_e32 v9, vcc_lo, 0, v5, vcc_lo
	s_delay_alu instid0(VALU_DEP_3) | instskip(SKIP_4) | instid1(VALU_DEP_1)
	v_mul_u32_u24_e32 v231, 0x80a, v10
	s_clause 0x1
	global_store_b128 v[206:207], v[143:146], off offset:3040
	global_store_b128 v[206:207], v[119:122], off offset:3824
	v_lshlrev_b64 v[0:1], 4, v[231:232]
	v_add_co_u32 v0, vcc_lo, v4, v0
	s_delay_alu instid0(VALU_DEP_2) | instskip(NEXT) | instid1(VALU_DEP_2)
	v_add_co_ci_u32_e32 v1, vcc_lo, v5, v1, vcc_lo
	v_add_co_u32 v2, vcc_lo, 0x2000, v0
	s_delay_alu instid0(VALU_DEP_2)
	v_add_co_ci_u32_e32 v3, vcc_lo, 0, v1, vcc_lo
	s_clause 0x5
	global_store_b128 v[8:9], v[139:142], off offset:336
	global_store_b128 v[8:9], v[115:118], off offset:1120
	;; [unrolled: 1-line block ×6, first 2 shown]
	scratch_load_b32 v6, off, off           ; 4-byte Folded Reload
	v_add_co_u32 v2, vcc_lo, 0x3000, v0
	v_add_co_ci_u32_e32 v3, vcc_lo, 0, v1, vcc_lo
	s_waitcnt vmcnt(0)
	v_mul_hi_u32 v10, 0xbf112a8b, v6
	v_add_co_u32 v6, vcc_lo, 0x4000, v0
	v_add_co_ci_u32_e32 v7, vcc_lo, 0, v1, vcc_lo
	v_add_co_u32 v8, vcc_lo, 0x6000, v0
	v_add_co_ci_u32_e32 v9, vcc_lo, 0, v1, vcc_lo
	v_lshrrev_b32_e32 v12, 8, v10
	v_add_co_u32 v10, vcc_lo, 0x7000, v0
	v_add_co_ci_u32_e32 v11, vcc_lo, 0, v1, vcc_lo
	s_clause 0x3
	global_store_b128 v[2:3], v[98:101], off offset:1824
	global_store_b128 v[6:7], v[94:97], off offset:3216
	;; [unrolled: 1-line block ×4, first 2 shown]
	scratch_load_b32 v9, off, off offset:16 ; 4-byte Folded Reload
	v_mul_u32_u24_e32 v231, 0x80a, v12
	v_add_co_u32 v0, vcc_lo, 0x8000, v0
	v_add_co_ci_u32_e32 v1, vcc_lo, 0, v1, vcc_lo
	s_delay_alu instid0(VALU_DEP_3) | instskip(SKIP_3) | instid1(VALU_DEP_2)
	v_lshlrev_b64 v[2:3], 4, v[231:232]
	global_store_b128 v[0:1], v[251:254], off offset:3296
	v_add_co_u32 v2, vcc_lo, v4, v2
	v_add_co_ci_u32_e32 v3, vcc_lo, v5, v3, vcc_lo
	v_add_co_u32 v0, vcc_lo, 0x2000, v2
	s_delay_alu instid0(VALU_DEP_2)
	v_add_co_ci_u32_e32 v1, vcc_lo, 0, v3, vcc_lo
	v_add_co_u32 v4, vcc_lo, 0x3000, v2
	v_add_co_ci_u32_e32 v5, vcc_lo, 0, v3, vcc_lo
	v_add_co_u32 v6, vcc_lo, 0x4000, v2
	v_add_co_ci_u32_e32 v7, vcc_lo, 0, v3, vcc_lo
	s_clause 0x3
	global_store_b128 v[2:3], v[26:29], off offset:3920
	global_store_b128 v[0:1], v[78:81], off offset:1216
	;; [unrolled: 1-line block ×4, first 2 shown]
	v_add_co_u32 v0, vcc_lo, 0x6000, v2
	v_add_co_ci_u32_e32 v1, vcc_lo, 0, v3, vcc_lo
	v_add_co_u32 v6, vcc_lo, 0x7000, v2
	v_add_co_ci_u32_e32 v7, vcc_lo, 0, v3, vcc_lo
	s_waitcnt vmcnt(0)
	v_mul_hi_u32 v8, 0xbf112a8b, v9
	s_delay_alu instid0(VALU_DEP_1) | instskip(NEXT) | instid1(VALU_DEP_1)
	v_lshrrev_b32_e32 v8, 8, v8
	v_mad_u32_u24 v231, 0x80a, v8, v9
	s_delay_alu instid0(VALU_DEP_1) | instskip(NEXT) | instid1(VALU_DEP_1)
	v_lshlrev_b64 v[4:5], 4, v[231:232]
	v_add_co_u32 v4, vcc_lo, v201, v4
	s_delay_alu instid0(VALU_DEP_2) | instskip(SKIP_2) | instid1(VALU_DEP_4)
	v_add_co_ci_u32_e32 v5, vcc_lo, v212, v5, vcc_lo
	v_add_co_u32 v2, vcc_lo, 0x8000, v2
	v_add_co_ci_u32_e32 v3, vcc_lo, 0, v3, vcc_lo
	v_add_co_u32 v8, vcc_lo, 0x1000, v4
	s_delay_alu instid0(VALU_DEP_4)
	v_add_co_ci_u32_e32 v9, vcc_lo, 0, v5, vcc_lo
	s_clause 0x4
	global_store_b128 v[0:1], v[58:61], off offset:1296
	global_store_b128 v[6:7], v[62:65], off offset:2688
	global_store_b128 v[2:3], v[66:69], off offset:4080
	global_store_b128 v[4:5], v[20:23], off
	global_store_b128 v[8:9], v[54:57], off offset:1392
	v_add_co_u32 v0, vcc_lo, 0x2000, v4
	v_add_co_ci_u32_e32 v1, vcc_lo, 0, v5, vcc_lo
	v_add_co_u32 v2, vcc_lo, 0x4000, v4
	v_add_co_ci_u32_e32 v3, vcc_lo, 0, v5, vcc_lo
	;; [unrolled: 2-line block ×5, first 2 shown]
	s_clause 0x4
	global_store_b128 v[0:1], v[46:49], off offset:2784
	global_store_b128 v[2:3], v[38:41], off offset:80
	;; [unrolled: 1-line block ×5, first 2 shown]
.LBB0_13:
	s_endpgm
	.section	.rodata,"a",@progbits
	.p2align	6, 0x0
	.amdhsa_kernel fft_rtc_fwd_len2401_factors_7_7_7_7_wgs_49_tpt_49_halfLds_dp_ip_CI_unitstride_sbrr_dirReg
		.amdhsa_group_segment_fixed_size 0
		.amdhsa_private_segment_fixed_size 352
		.amdhsa_kernarg_size 88
		.amdhsa_user_sgpr_count 15
		.amdhsa_user_sgpr_dispatch_ptr 0
		.amdhsa_user_sgpr_queue_ptr 0
		.amdhsa_user_sgpr_kernarg_segment_ptr 1
		.amdhsa_user_sgpr_dispatch_id 0
		.amdhsa_user_sgpr_private_segment_size 0
		.amdhsa_wavefront_size32 1
		.amdhsa_uses_dynamic_stack 0
		.amdhsa_enable_private_segment 1
		.amdhsa_system_sgpr_workgroup_id_x 1
		.amdhsa_system_sgpr_workgroup_id_y 0
		.amdhsa_system_sgpr_workgroup_id_z 0
		.amdhsa_system_sgpr_workgroup_info 0
		.amdhsa_system_vgpr_workitem_id 0
		.amdhsa_next_free_vgpr 256
		.amdhsa_next_free_sgpr 25
		.amdhsa_reserve_vcc 1
		.amdhsa_float_round_mode_32 0
		.amdhsa_float_round_mode_16_64 0
		.amdhsa_float_denorm_mode_32 3
		.amdhsa_float_denorm_mode_16_64 3
		.amdhsa_dx10_clamp 1
		.amdhsa_ieee_mode 1
		.amdhsa_fp16_overflow 0
		.amdhsa_workgroup_processor_mode 1
		.amdhsa_memory_ordered 1
		.amdhsa_forward_progress 0
		.amdhsa_shared_vgpr_count 0
		.amdhsa_exception_fp_ieee_invalid_op 0
		.amdhsa_exception_fp_denorm_src 0
		.amdhsa_exception_fp_ieee_div_zero 0
		.amdhsa_exception_fp_ieee_overflow 0
		.amdhsa_exception_fp_ieee_underflow 0
		.amdhsa_exception_fp_ieee_inexact 0
		.amdhsa_exception_int_div_zero 0
	.end_amdhsa_kernel
	.text
.Lfunc_end0:
	.size	fft_rtc_fwd_len2401_factors_7_7_7_7_wgs_49_tpt_49_halfLds_dp_ip_CI_unitstride_sbrr_dirReg, .Lfunc_end0-fft_rtc_fwd_len2401_factors_7_7_7_7_wgs_49_tpt_49_halfLds_dp_ip_CI_unitstride_sbrr_dirReg
                                        ; -- End function
	.section	.AMDGPU.csdata,"",@progbits
; Kernel info:
; codeLenInByte = 35404
; NumSgprs: 27
; NumVgprs: 256
; ScratchSize: 352
; MemoryBound: 1
; FloatMode: 240
; IeeeMode: 1
; LDSByteSize: 0 bytes/workgroup (compile time only)
; SGPRBlocks: 3
; VGPRBlocks: 31
; NumSGPRsForWavesPerEU: 27
; NumVGPRsForWavesPerEU: 256
; Occupancy: 5
; WaveLimiterHint : 1
; COMPUTE_PGM_RSRC2:SCRATCH_EN: 1
; COMPUTE_PGM_RSRC2:USER_SGPR: 15
; COMPUTE_PGM_RSRC2:TRAP_HANDLER: 0
; COMPUTE_PGM_RSRC2:TGID_X_EN: 1
; COMPUTE_PGM_RSRC2:TGID_Y_EN: 0
; COMPUTE_PGM_RSRC2:TGID_Z_EN: 0
; COMPUTE_PGM_RSRC2:TIDIG_COMP_CNT: 0
	.text
	.p2alignl 7, 3214868480
	.fill 96, 4, 3214868480
	.type	__hip_cuid_fa192c3b85e84cff,@object ; @__hip_cuid_fa192c3b85e84cff
	.section	.bss,"aw",@nobits
	.globl	__hip_cuid_fa192c3b85e84cff
__hip_cuid_fa192c3b85e84cff:
	.byte	0                               ; 0x0
	.size	__hip_cuid_fa192c3b85e84cff, 1

	.ident	"AMD clang version 19.0.0git (https://github.com/RadeonOpenCompute/llvm-project roc-6.4.0 25133 c7fe45cf4b819c5991fe208aaa96edf142730f1d)"
	.section	".note.GNU-stack","",@progbits
	.addrsig
	.addrsig_sym __hip_cuid_fa192c3b85e84cff
	.amdgpu_metadata
---
amdhsa.kernels:
  - .args:
      - .actual_access:  read_only
        .address_space:  global
        .offset:         0
        .size:           8
        .value_kind:     global_buffer
      - .offset:         8
        .size:           8
        .value_kind:     by_value
      - .actual_access:  read_only
        .address_space:  global
        .offset:         16
        .size:           8
        .value_kind:     global_buffer
      - .actual_access:  read_only
        .address_space:  global
        .offset:         24
        .size:           8
        .value_kind:     global_buffer
      - .offset:         32
        .size:           8
        .value_kind:     by_value
      - .actual_access:  read_only
        .address_space:  global
        .offset:         40
        .size:           8
        .value_kind:     global_buffer
      - .actual_access:  read_only
        .address_space:  global
        .offset:         48
        .size:           8
        .value_kind:     global_buffer
      - .offset:         56
        .size:           4
        .value_kind:     by_value
      - .actual_access:  read_only
        .address_space:  global
        .offset:         64
        .size:           8
        .value_kind:     global_buffer
      - .actual_access:  read_only
        .address_space:  global
        .offset:         72
        .size:           8
        .value_kind:     global_buffer
      - .address_space:  global
        .offset:         80
        .size:           8
        .value_kind:     global_buffer
    .group_segment_fixed_size: 0
    .kernarg_segment_align: 8
    .kernarg_segment_size: 88
    .language:       OpenCL C
    .language_version:
      - 2
      - 0
    .max_flat_workgroup_size: 49
    .name:           fft_rtc_fwd_len2401_factors_7_7_7_7_wgs_49_tpt_49_halfLds_dp_ip_CI_unitstride_sbrr_dirReg
    .private_segment_fixed_size: 352
    .sgpr_count:     27
    .sgpr_spill_count: 0
    .symbol:         fft_rtc_fwd_len2401_factors_7_7_7_7_wgs_49_tpt_49_halfLds_dp_ip_CI_unitstride_sbrr_dirReg.kd
    .uniform_work_group_size: 1
    .uses_dynamic_stack: false
    .vgpr_count:     256
    .vgpr_spill_count: 161
    .wavefront_size: 32
    .workgroup_processor_mode: 1
amdhsa.target:   amdgcn-amd-amdhsa--gfx1100
amdhsa.version:
  - 1
  - 2
...

	.end_amdgpu_metadata
